;; amdgpu-corpus repo=ROCm/rocFFT kind=compiled arch=gfx1201 opt=O3
	.text
	.amdgcn_target "amdgcn-amd-amdhsa--gfx1201"
	.amdhsa_code_object_version 6
	.protected	fft_rtc_back_len748_factors_17_4_11_wgs_204_tpt_68_halfLds_dp_op_CI_CI_unitstride_sbrr_dirReg ; -- Begin function fft_rtc_back_len748_factors_17_4_11_wgs_204_tpt_68_halfLds_dp_op_CI_CI_unitstride_sbrr_dirReg
	.globl	fft_rtc_back_len748_factors_17_4_11_wgs_204_tpt_68_halfLds_dp_op_CI_CI_unitstride_sbrr_dirReg
	.p2align	8
	.type	fft_rtc_back_len748_factors_17_4_11_wgs_204_tpt_68_halfLds_dp_op_CI_CI_unitstride_sbrr_dirReg,@function
fft_rtc_back_len748_factors_17_4_11_wgs_204_tpt_68_halfLds_dp_op_CI_CI_unitstride_sbrr_dirReg: ; @fft_rtc_back_len748_factors_17_4_11_wgs_204_tpt_68_halfLds_dp_op_CI_CI_unitstride_sbrr_dirReg
; %bb.0:
	s_load_b128 s[8:11], s[0:1], 0x0
	v_mul_u32_u24_e32 v1, 0x3c4, v0
	s_clause 0x1
	s_load_b128 s[4:7], s[0:1], 0x58
	s_load_b128 s[12:15], s[0:1], 0x18
	v_mov_b32_e32 v20, 0
	v_lshrrev_b32_e32 v2, 16, v1
	v_mov_b32_e32 v1, 0
	s_delay_alu instid0(VALU_DEP_2) | instskip(NEXT) | instid1(VALU_DEP_2)
	v_mad_co_u64_u32 v[76:77], null, ttmp9, 3, v[2:3]
	v_mov_b32_e32 v77, v1
	v_mov_b32_e32 v21, 0
	s_delay_alu instid0(VALU_DEP_2) | instskip(SKIP_2) | instid1(VALU_DEP_3)
	v_dual_mov_b32 v99, v77 :: v_dual_mov_b32 v98, v76
	s_wait_kmcnt 0x0
	v_cmp_lt_u64_e64 s2, s[10:11], 2
	v_dual_mov_b32 v97, v21 :: v_dual_mov_b32 v96, v20
	s_delay_alu instid0(VALU_DEP_2)
	s_and_b32 vcc_lo, exec_lo, s2
	s_cbranch_vccnz .LBB0_8
; %bb.1:
	s_load_b64 s[2:3], s[0:1], 0x10
	v_dual_mov_b32 v20, 0 :: v_dual_mov_b32 v3, v76
	v_dual_mov_b32 v21, 0 :: v_dual_mov_b32 v4, v77
	s_add_nc_u64 s[16:17], s[14:15], 8
	s_add_nc_u64 s[18:19], s[12:13], 8
	s_mov_b64 s[20:21], 1
	s_delay_alu instid0(VALU_DEP_1)
	v_dual_mov_b32 v97, v21 :: v_dual_mov_b32 v96, v20
	s_wait_kmcnt 0x0
	s_add_nc_u64 s[22:23], s[2:3], 8
	s_mov_b32 s3, 0
.LBB0_2:                                ; =>This Inner Loop Header: Depth=1
	s_load_b64 s[24:25], s[22:23], 0x0
                                        ; implicit-def: $vgpr98_vgpr99
	s_mov_b32 s2, exec_lo
	s_wait_kmcnt 0x0
	v_or_b32_e32 v2, s25, v4
	s_delay_alu instid0(VALU_DEP_1)
	v_cmpx_ne_u64_e32 0, v[1:2]
	s_wait_alu 0xfffe
	s_xor_b32 s26, exec_lo, s2
	s_cbranch_execz .LBB0_4
; %bb.3:                                ;   in Loop: Header=BB0_2 Depth=1
	s_cvt_f32_u32 s2, s24
	s_cvt_f32_u32 s27, s25
	s_sub_nc_u64 s[30:31], 0, s[24:25]
	s_wait_alu 0xfffe
	s_delay_alu instid0(SALU_CYCLE_1) | instskip(SKIP_1) | instid1(SALU_CYCLE_2)
	s_fmamk_f32 s2, s27, 0x4f800000, s2
	s_wait_alu 0xfffe
	v_s_rcp_f32 s2, s2
	s_delay_alu instid0(TRANS32_DEP_1) | instskip(SKIP_1) | instid1(SALU_CYCLE_2)
	s_mul_f32 s2, s2, 0x5f7ffffc
	s_wait_alu 0xfffe
	s_mul_f32 s27, s2, 0x2f800000
	s_wait_alu 0xfffe
	s_delay_alu instid0(SALU_CYCLE_2) | instskip(SKIP_1) | instid1(SALU_CYCLE_2)
	s_trunc_f32 s27, s27
	s_wait_alu 0xfffe
	s_fmamk_f32 s2, s27, 0xcf800000, s2
	s_cvt_u32_f32 s29, s27
	s_wait_alu 0xfffe
	s_delay_alu instid0(SALU_CYCLE_1) | instskip(SKIP_1) | instid1(SALU_CYCLE_2)
	s_cvt_u32_f32 s28, s2
	s_wait_alu 0xfffe
	s_mul_u64 s[34:35], s[30:31], s[28:29]
	s_wait_alu 0xfffe
	s_mul_hi_u32 s37, s28, s35
	s_mul_i32 s36, s28, s35
	s_mul_hi_u32 s2, s28, s34
	s_mul_i32 s33, s29, s34
	s_wait_alu 0xfffe
	s_add_nc_u64 s[36:37], s[2:3], s[36:37]
	s_mul_hi_u32 s27, s29, s34
	s_mul_hi_u32 s38, s29, s35
	s_add_co_u32 s2, s36, s33
	s_wait_alu 0xfffe
	s_add_co_ci_u32 s2, s37, s27
	s_mul_i32 s34, s29, s35
	s_add_co_ci_u32 s35, s38, 0
	s_wait_alu 0xfffe
	s_add_nc_u64 s[34:35], s[2:3], s[34:35]
	s_wait_alu 0xfffe
	v_add_co_u32 v2, s2, s28, s34
	s_delay_alu instid0(VALU_DEP_1) | instskip(SKIP_1) | instid1(VALU_DEP_1)
	s_cmp_lg_u32 s2, 0
	s_add_co_ci_u32 s29, s29, s35
	v_readfirstlane_b32 s28, v2
	s_wait_alu 0xfffe
	s_delay_alu instid0(VALU_DEP_1)
	s_mul_u64 s[30:31], s[30:31], s[28:29]
	s_wait_alu 0xfffe
	s_mul_hi_u32 s35, s28, s31
	s_mul_i32 s34, s28, s31
	s_mul_hi_u32 s2, s28, s30
	s_mul_i32 s33, s29, s30
	s_wait_alu 0xfffe
	s_add_nc_u64 s[34:35], s[2:3], s[34:35]
	s_mul_hi_u32 s27, s29, s30
	s_mul_hi_u32 s28, s29, s31
	s_wait_alu 0xfffe
	s_add_co_u32 s2, s34, s33
	s_add_co_ci_u32 s2, s35, s27
	s_mul_i32 s30, s29, s31
	s_add_co_ci_u32 s31, s28, 0
	s_wait_alu 0xfffe
	s_add_nc_u64 s[30:31], s[2:3], s[30:31]
	s_wait_alu 0xfffe
	v_add_co_u32 v2, s2, v2, s30
	s_delay_alu instid0(VALU_DEP_1) | instskip(SKIP_1) | instid1(VALU_DEP_1)
	s_cmp_lg_u32 s2, 0
	s_add_co_ci_u32 s2, s29, s31
	v_mul_hi_u32 v11, v3, v2
	s_wait_alu 0xfffe
	v_mad_co_u64_u32 v[5:6], null, v3, s2, 0
	v_mad_co_u64_u32 v[7:8], null, v4, v2, 0
	;; [unrolled: 1-line block ×3, first 2 shown]
	s_delay_alu instid0(VALU_DEP_3) | instskip(SKIP_1) | instid1(VALU_DEP_4)
	v_add_co_u32 v2, vcc_lo, v11, v5
	s_wait_alu 0xfffd
	v_add_co_ci_u32_e32 v5, vcc_lo, 0, v6, vcc_lo
	s_delay_alu instid0(VALU_DEP_2) | instskip(SKIP_1) | instid1(VALU_DEP_2)
	v_add_co_u32 v2, vcc_lo, v2, v7
	s_wait_alu 0xfffd
	v_add_co_ci_u32_e32 v2, vcc_lo, v5, v8, vcc_lo
	s_wait_alu 0xfffd
	v_add_co_ci_u32_e32 v5, vcc_lo, 0, v10, vcc_lo
	s_delay_alu instid0(VALU_DEP_2) | instskip(SKIP_1) | instid1(VALU_DEP_2)
	v_add_co_u32 v2, vcc_lo, v2, v9
	s_wait_alu 0xfffd
	v_add_co_ci_u32_e32 v7, vcc_lo, 0, v5, vcc_lo
	s_delay_alu instid0(VALU_DEP_2) | instskip(SKIP_1) | instid1(VALU_DEP_3)
	v_mul_lo_u32 v8, s25, v2
	v_mad_co_u64_u32 v[5:6], null, s24, v2, 0
	v_mul_lo_u32 v9, s24, v7
	s_delay_alu instid0(VALU_DEP_2) | instskip(NEXT) | instid1(VALU_DEP_2)
	v_sub_co_u32 v5, vcc_lo, v3, v5
	v_add3_u32 v6, v6, v9, v8
	s_delay_alu instid0(VALU_DEP_1) | instskip(SKIP_1) | instid1(VALU_DEP_1)
	v_sub_nc_u32_e32 v8, v4, v6
	s_wait_alu 0xfffd
	v_subrev_co_ci_u32_e64 v8, s2, s25, v8, vcc_lo
	v_add_co_u32 v9, s2, v2, 2
	s_wait_alu 0xf1ff
	v_add_co_ci_u32_e64 v10, s2, 0, v7, s2
	v_sub_co_u32 v11, s2, v5, s24
	v_sub_co_ci_u32_e32 v6, vcc_lo, v4, v6, vcc_lo
	s_wait_alu 0xf1ff
	v_subrev_co_ci_u32_e64 v8, s2, 0, v8, s2
	s_delay_alu instid0(VALU_DEP_3) | instskip(NEXT) | instid1(VALU_DEP_3)
	v_cmp_le_u32_e32 vcc_lo, s24, v11
	v_cmp_eq_u32_e64 s2, s25, v6
	s_wait_alu 0xfffd
	v_cndmask_b32_e64 v11, 0, -1, vcc_lo
	v_cmp_le_u32_e32 vcc_lo, s25, v8
	s_wait_alu 0xfffd
	v_cndmask_b32_e64 v12, 0, -1, vcc_lo
	v_cmp_le_u32_e32 vcc_lo, s24, v5
	;; [unrolled: 3-line block ×3, first 2 shown]
	s_wait_alu 0xfffd
	v_cndmask_b32_e64 v13, 0, -1, vcc_lo
	v_cmp_eq_u32_e32 vcc_lo, s25, v8
	s_wait_alu 0xf1ff
	s_delay_alu instid0(VALU_DEP_2)
	v_cndmask_b32_e64 v5, v13, v5, s2
	s_wait_alu 0xfffd
	v_cndmask_b32_e32 v8, v12, v11, vcc_lo
	v_add_co_u32 v11, vcc_lo, v2, 1
	s_wait_alu 0xfffd
	v_add_co_ci_u32_e32 v12, vcc_lo, 0, v7, vcc_lo
	s_delay_alu instid0(VALU_DEP_3) | instskip(SKIP_1) | instid1(VALU_DEP_2)
	v_cmp_ne_u32_e32 vcc_lo, 0, v8
	s_wait_alu 0xfffd
	v_cndmask_b32_e32 v6, v12, v10, vcc_lo
	v_cndmask_b32_e32 v8, v11, v9, vcc_lo
	v_cmp_ne_u32_e32 vcc_lo, 0, v5
	s_wait_alu 0xfffd
	s_delay_alu instid0(VALU_DEP_2)
	v_dual_cndmask_b32 v99, v7, v6 :: v_dual_cndmask_b32 v98, v2, v8
.LBB0_4:                                ;   in Loop: Header=BB0_2 Depth=1
	s_wait_alu 0xfffe
	s_and_not1_saveexec_b32 s2, s26
	s_cbranch_execz .LBB0_6
; %bb.5:                                ;   in Loop: Header=BB0_2 Depth=1
	v_cvt_f32_u32_e32 v2, s24
	s_sub_co_i32 s26, 0, s24
	v_mov_b32_e32 v99, v1
	s_delay_alu instid0(VALU_DEP_2) | instskip(NEXT) | instid1(TRANS32_DEP_1)
	v_rcp_iflag_f32_e32 v2, v2
	v_mul_f32_e32 v2, 0x4f7ffffe, v2
	s_delay_alu instid0(VALU_DEP_1) | instskip(SKIP_1) | instid1(VALU_DEP_1)
	v_cvt_u32_f32_e32 v2, v2
	s_wait_alu 0xfffe
	v_mul_lo_u32 v5, s26, v2
	s_delay_alu instid0(VALU_DEP_1) | instskip(NEXT) | instid1(VALU_DEP_1)
	v_mul_hi_u32 v5, v2, v5
	v_add_nc_u32_e32 v2, v2, v5
	s_delay_alu instid0(VALU_DEP_1) | instskip(NEXT) | instid1(VALU_DEP_1)
	v_mul_hi_u32 v2, v3, v2
	v_mul_lo_u32 v5, v2, s24
	v_add_nc_u32_e32 v6, 1, v2
	s_delay_alu instid0(VALU_DEP_2) | instskip(NEXT) | instid1(VALU_DEP_1)
	v_sub_nc_u32_e32 v5, v3, v5
	v_subrev_nc_u32_e32 v7, s24, v5
	v_cmp_le_u32_e32 vcc_lo, s24, v5
	s_wait_alu 0xfffd
	s_delay_alu instid0(VALU_DEP_2) | instskip(NEXT) | instid1(VALU_DEP_1)
	v_dual_cndmask_b32 v5, v5, v7 :: v_dual_cndmask_b32 v2, v2, v6
	v_cmp_le_u32_e32 vcc_lo, s24, v5
	s_delay_alu instid0(VALU_DEP_2) | instskip(SKIP_1) | instid1(VALU_DEP_1)
	v_add_nc_u32_e32 v6, 1, v2
	s_wait_alu 0xfffd
	v_cndmask_b32_e32 v98, v2, v6, vcc_lo
.LBB0_6:                                ;   in Loop: Header=BB0_2 Depth=1
	s_wait_alu 0xfffe
	s_or_b32 exec_lo, exec_lo, s2
	v_mul_lo_u32 v2, v99, s24
	s_delay_alu instid0(VALU_DEP_2)
	v_mul_lo_u32 v7, v98, s25
	s_load_b64 s[26:27], s[18:19], 0x0
	v_mad_co_u64_u32 v[5:6], null, v98, s24, 0
	s_load_b64 s[24:25], s[16:17], 0x0
	s_add_nc_u64 s[20:21], s[20:21], 1
	s_add_nc_u64 s[16:17], s[16:17], 8
	s_wait_alu 0xfffe
	v_cmp_ge_u64_e64 s2, s[20:21], s[10:11]
	s_add_nc_u64 s[18:19], s[18:19], 8
	s_add_nc_u64 s[22:23], s[22:23], 8
	v_add3_u32 v2, v6, v7, v2
	v_sub_co_u32 v3, vcc_lo, v3, v5
	s_wait_alu 0xfffd
	s_delay_alu instid0(VALU_DEP_2) | instskip(SKIP_2) | instid1(VALU_DEP_1)
	v_sub_co_ci_u32_e32 v2, vcc_lo, v4, v2, vcc_lo
	s_and_b32 vcc_lo, exec_lo, s2
	s_wait_kmcnt 0x0
	v_mul_lo_u32 v4, s26, v2
	v_mul_lo_u32 v5, s27, v3
	v_mad_co_u64_u32 v[20:21], null, s26, v3, v[20:21]
	v_mul_lo_u32 v2, s24, v2
	v_mul_lo_u32 v6, s25, v3
	v_mad_co_u64_u32 v[96:97], null, s24, v3, v[96:97]
	s_delay_alu instid0(VALU_DEP_4) | instskip(NEXT) | instid1(VALU_DEP_2)
	v_add3_u32 v21, v5, v21, v4
	v_add3_u32 v97, v6, v97, v2
	s_wait_alu 0xfffe
	s_cbranch_vccnz .LBB0_8
; %bb.7:                                ;   in Loop: Header=BB0_2 Depth=1
	v_dual_mov_b32 v3, v98 :: v_dual_mov_b32 v4, v99
	s_branch .LBB0_2
.LBB0_8:
	s_load_b64 s[0:1], s[0:1], 0x28
	s_lshl_b64 s[10:11], s[10:11], 3
	v_mul_hi_u32 v1, 0x3c3c3c4, v0
	s_wait_alu 0xfffe
	s_add_nc_u64 s[2:3], s[14:15], s[10:11]
	v_mov_b32_e32 v100, 0
	s_load_b64 s[2:3], s[2:3], 0x0
                                        ; implicit-def: $vgpr50_vgpr51
                                        ; implicit-def: $vgpr54_vgpr55
                                        ; implicit-def: $vgpr70_vgpr71
                                        ; implicit-def: $vgpr74_vgpr75
                                        ; implicit-def: $vgpr42_vgpr43
                                        ; implicit-def: $vgpr34_vgpr35
                                        ; implicit-def: $vgpr2_vgpr3
                                        ; implicit-def: $vgpr6_vgpr7
                                        ; implicit-def: $vgpr10_vgpr11
                                        ; implicit-def: $vgpr14_vgpr15
                                        ; implicit-def: $vgpr18_vgpr19
                                        ; implicit-def: $vgpr30_vgpr31
                                        ; implicit-def: $vgpr46_vgpr47
                                        ; implicit-def: $vgpr58_vgpr59
                                        ; implicit-def: $vgpr66_vgpr67
                                        ; implicit-def: $vgpr62_vgpr63
                                        ; implicit-def: $vgpr26_vgpr27
	s_delay_alu instid0(VALU_DEP_2) | instskip(NEXT) | instid1(VALU_DEP_1)
	v_mul_u32_u24_e32 v1, 0x44, v1
	v_sub_nc_u32_e32 v101, v0, v1
	s_wait_kmcnt 0x0
	v_cmp_gt_u64_e32 vcc_lo, s[0:1], v[98:99]
	s_and_saveexec_b32 s1, vcc_lo
	s_cbranch_execz .LBB0_12
; %bb.9:
	s_mov_b32 s14, exec_lo
                                        ; implicit-def: $vgpr24_vgpr25
                                        ; implicit-def: $vgpr60_vgpr61
                                        ; implicit-def: $vgpr64_vgpr65
                                        ; implicit-def: $vgpr56_vgpr57
                                        ; implicit-def: $vgpr44_vgpr45
                                        ; implicit-def: $vgpr28_vgpr29
                                        ; implicit-def: $vgpr16_vgpr17
                                        ; implicit-def: $vgpr12_vgpr13
                                        ; implicit-def: $vgpr8_vgpr9
                                        ; implicit-def: $vgpr4_vgpr5
                                        ; implicit-def: $vgpr0_vgpr1
                                        ; implicit-def: $vgpr32_vgpr33
                                        ; implicit-def: $vgpr40_vgpr41
                                        ; implicit-def: $vgpr72_vgpr73
                                        ; implicit-def: $vgpr68_vgpr69
                                        ; implicit-def: $vgpr52_vgpr53
                                        ; implicit-def: $vgpr48_vgpr49
	v_cmpx_gt_u32_e32 44, v101
	s_cbranch_execz .LBB0_11
; %bb.10:
	s_add_nc_u64 s[10:11], s[12:13], s[10:11]
	v_mov_b32_e32 v102, 0
	s_load_b64 s[10:11], s[10:11], 0x0
	s_wait_kmcnt 0x0
	v_mul_lo_u32 v2, s11, v98
	v_mul_lo_u32 v3, s10, v99
	v_mad_co_u64_u32 v[0:1], null, s10, v98, 0
	s_delay_alu instid0(VALU_DEP_1) | instskip(SKIP_1) | instid1(VALU_DEP_2)
	v_add3_u32 v1, v1, v3, v2
	v_lshlrev_b64_e32 v[2:3], 4, v[20:21]
	v_lshlrev_b64_e32 v[0:1], 4, v[0:1]
	s_delay_alu instid0(VALU_DEP_1) | instskip(SKIP_1) | instid1(VALU_DEP_2)
	v_add_co_u32 v4, s0, s4, v0
	s_wait_alu 0xf1ff
	v_add_co_ci_u32_e64 v5, s0, s5, v1, s0
	v_lshlrev_b64_e32 v[0:1], 4, v[101:102]
	s_delay_alu instid0(VALU_DEP_3) | instskip(SKIP_1) | instid1(VALU_DEP_3)
	v_add_co_u32 v2, s0, v4, v2
	s_wait_alu 0xf1ff
	v_add_co_ci_u32_e64 v3, s0, v5, v3, s0
	s_delay_alu instid0(VALU_DEP_2) | instskip(SKIP_1) | instid1(VALU_DEP_2)
	v_add_co_u32 v0, s0, v2, v0
	s_wait_alu 0xf1ff
	v_add_co_ci_u32_e64 v1, s0, v3, v1, s0
	s_clause 0x10
	global_load_b128 v[24:27], v[0:1], off
	global_load_b128 v[48:51], v[0:1], off offset:704
	global_load_b128 v[52:55], v[0:1], off offset:1408
	;; [unrolled: 1-line block ×16, first 2 shown]
.LBB0_11:
	s_or_b32 exec_lo, exec_lo, s14
	v_mov_b32_e32 v100, v101
.LBB0_12:
	s_wait_alu 0xfffe
	s_or_b32 exec_lo, exec_lo, s1
	s_wait_loadcnt 0x0
	v_add_f64_e64 v[77:78], v[50:51], -v[2:3]
	s_mov_b32 s4, 0x6c9a05f6
	s_mov_b32 s10, 0x4363dd80
	;; [unrolled: 1-line block ×6, first 2 shown]
	v_add_f64_e32 v[81:82], v[48:49], v[0:1]
	v_add_f64_e64 v[79:80], v[54:55], -v[6:7]
	s_mov_b32 s22, 0x6ed5f1bb
	s_mov_b32 s40, 0x923c349f
	;; [unrolled: 1-line block ×12, first 2 shown]
	v_add_f64_e32 v[146:147], v[52:53], v[4:5]
	v_add_f64_e64 v[120:121], v[62:63], -v[10:11]
	s_mov_b32 s36, 0xc61f0d01
	s_mov_b32 s38, 0x2b2883cd
	;; [unrolled: 1-line block ×10, first 2 shown]
	v_add_f64_e32 v[144:145], v[8:9], v[60:61]
	v_add_f64_e64 v[114:115], v[66:67], -v[14:15]
	s_mov_b32 s48, 0x3259b75e
	s_mov_b32 s26, 0x2a9d6da3
	;; [unrolled: 1-line block ×3, first 2 shown]
	s_wait_alu 0xfffe
	v_mul_f64_e32 v[128:129], s[4:5], v[77:78]
	v_mul_f64_e32 v[130:131], s[10:11], v[77:78]
	v_mul_f64_e32 v[20:21], s[12:13], v[77:78]
	s_mov_b32 s29, 0x3fe9895b
	s_mov_b32 s27, 0x3fe58eea
	;; [unrolled: 1-line block ×3, first 2 shown]
	v_add_f64_e32 v[142:143], v[12:13], v[64:65]
	v_add_f64_e64 v[106:107], v[70:71], -v[18:19]
	v_mul_f64_e32 v[138:139], s[40:41], v[79:80]
	v_mul_f64_e32 v[140:141], s[18:19], v[79:80]
	;; [unrolled: 1-line block ×3, first 2 shown]
	s_mov_b32 s46, 0x75d4884
	s_mov_b32 s45, 0x3fefdd0d
	;; [unrolled: 1-line block ×4, first 2 shown]
	v_add_f64_e32 v[134:135], v[68:69], v[16:17]
	s_mov_b32 s43, 0xbfe58eea
	s_mov_b32 s42, s26
	v_add_f64_e32 v[122:123], v[72:73], v[28:29]
	s_mov_b32 s51, 0xbfeec746
	s_mov_b32 s50, s40
	v_mul_hi_u32 v95, 0xaaaaaaab, v76
	v_mul_f64_e32 v[132:133], s[16:17], v[120:121]
	v_mul_f64_e32 v[136:137], s[30:31], v[120:121]
	;; [unrolled: 1-line block ×3, first 2 shown]
	v_cmp_gt_u32_e64 s1, 44, v101
	v_lshrrev_b32_e32 v95, 1, v95
	v_mul_f64_e32 v[124:125], s[10:11], v[114:115]
	s_wait_alu 0xfffe
	v_mul_f64_e32 v[126:127], s[28:29], v[114:115]
	v_mul_f64_e32 v[93:94], s[26:27], v[114:115]
	v_lshl_add_u32 v95, v95, 1, v95
	v_fma_f64 v[36:37], v[81:82], s[22:23], -v[128:129]
	v_fma_f64 v[38:39], v[81:82], s[20:21], -v[130:131]
	v_fma_f64 v[83:84], v[81:82], s[24:25], v[20:21]
	v_fma_f64 v[20:21], v[81:82], s[24:25], -v[20:21]
	v_sub_nc_u32_e32 v76, v76, v95
	v_mul_f64_e32 v[116:117], s[44:45], v[106:107]
	v_fma_f64 v[87:88], v[146:147], s[36:37], -v[138:139]
	v_fma_f64 v[89:90], v[146:147], s[38:39], -v[140:141]
	v_fma_f64 v[91:92], v[146:147], s[34:35], v[22:23]
	v_fma_f64 v[22:23], v[146:147], s[34:35], -v[22:23]
	v_mul_f64_e32 v[118:119], s[16:17], v[106:107]
	v_mul_u32_u24_e32 v76, 0x2ec, v76
	v_fma_f64 v[102:103], v[144:145], s[34:35], -v[132:133]
	v_fma_f64 v[104:105], v[144:145], s[48:49], -v[136:137]
	v_fma_f64 v[108:109], v[144:145], s[20:21], v[85:86]
	v_fma_f64 v[85:86], v[144:145], s[20:21], -v[85:86]
	v_fma_f64 v[112:113], v[142:143], s[46:47], v[93:94]
	v_fma_f64 v[93:94], v[142:143], s[46:47], -v[93:94]
	v_add_f64_e32 v[36:37], v[36:37], v[24:25]
	v_add_f64_e32 v[38:39], v[38:39], v[24:25]
	v_add_f64_e32 v[83:84], v[83:84], v[24:25]
	v_add_f64_e32 v[20:21], v[20:21], v[24:25]
	v_fma_f64 v[148:149], v[134:135], s[48:49], -v[116:117]
	v_fma_f64 v[150:151], v[134:135], s[34:35], -v[118:119]
	v_add_f64_e32 v[36:37], v[87:88], v[36:37]
	v_add_f64_e32 v[38:39], v[89:90], v[38:39]
	;; [unrolled: 1-line block ×4, first 2 shown]
	v_add_f64_e64 v[91:92], v[74:75], -v[30:31]
	v_mul_f64_e32 v[22:23], s[4:5], v[106:107]
	v_fma_f64 v[87:88], v[142:143], s[20:21], -v[124:125]
	v_fma_f64 v[89:90], v[142:143], s[22:23], -v[126:127]
	v_add_f64_e32 v[36:37], v[102:103], v[36:37]
	v_add_f64_e32 v[38:39], v[104:105], v[38:39]
	v_add_f64_e32 v[83:84], v[108:109], v[83:84]
	v_add_f64_e32 v[20:21], v[85:86], v[20:21]
	v_add_f64_e64 v[85:86], v[58:59], -v[34:35]
	v_mul_f64_e32 v[108:109], s[42:43], v[91:92]
	v_mul_f64_e32 v[110:111], s[12:13], v[91:92]
	;; [unrolled: 1-line block ×3, first 2 shown]
	v_fma_f64 v[152:153], v[134:135], s[22:23], v[22:23]
	v_fma_f64 v[22:23], v[134:135], s[22:23], -v[22:23]
	v_add_f64_e32 v[36:37], v[87:88], v[36:37]
	v_add_f64_e32 v[38:39], v[89:90], v[38:39]
	v_add_f64_e32 v[87:88], v[112:113], v[83:84]
	v_add_f64_e32 v[20:21], v[93:94], v[20:21]
	v_add_f64_e32 v[112:113], v[32:33], v[56:57]
	v_add_f64_e64 v[83:84], v[46:47], -v[42:43]
	v_mul_f64_e32 v[93:94], s[12:13], v[85:86]
	v_mul_f64_e32 v[102:103], s[26:27], v[85:86]
	;; [unrolled: 1-line block ×3, first 2 shown]
	v_fma_f64 v[156:157], v[122:123], s[46:47], -v[108:109]
	v_fma_f64 v[158:159], v[122:123], s[24:25], -v[110:111]
	v_fma_f64 v[160:161], v[122:123], s[38:39], v[104:105]
	v_fma_f64 v[162:163], v[122:123], s[38:39], -v[104:105]
	v_add_f64_e32 v[104:105], v[40:41], v[44:45]
	v_add_f64_e32 v[36:37], v[148:149], v[36:37]
	;; [unrolled: 1-line block ×5, first 2 shown]
	v_mul_f64_e32 v[87:88], s[18:19], v[83:84]
	v_mul_f64_e32 v[89:90], s[50:51], v[83:84]
	;; [unrolled: 1-line block ×3, first 2 shown]
	v_fma_f64 v[150:151], v[112:113], s[24:25], -v[93:94]
	v_fma_f64 v[152:153], v[112:113], s[46:47], -v[102:103]
	v_fma_f64 v[164:165], v[112:113], s[36:37], v[154:155]
	v_fma_f64 v[154:155], v[112:113], s[36:37], -v[154:155]
	v_add_f64_e32 v[36:37], v[156:157], v[36:37]
	v_add_f64_e32 v[38:39], v[158:159], v[38:39]
	;; [unrolled: 1-line block ×4, first 2 shown]
	v_fma_f64 v[156:157], v[104:105], s[38:39], -v[87:88]
	v_fma_f64 v[158:159], v[104:105], s[36:37], -v[89:90]
	v_fma_f64 v[160:161], v[104:105], s[48:49], v[22:23]
	v_fma_f64 v[162:163], v[104:105], s[48:49], -v[22:23]
	v_add_f64_e32 v[22:23], v[150:151], v[36:37]
	v_add_f64_e32 v[36:37], v[152:153], v[38:39]
	;; [unrolled: 1-line block ×4, first 2 shown]
	s_delay_alu instid0(VALU_DEP_4) | instskip(NEXT) | instid1(VALU_DEP_4)
	v_add_f64_e32 v[22:23], v[156:157], v[22:23]
	v_add_f64_e32 v[20:21], v[158:159], v[36:37]
	s_delay_alu instid0(VALU_DEP_4) | instskip(NEXT) | instid1(VALU_DEP_4)
	v_add_f64_e32 v[36:37], v[160:161], v[38:39]
	v_add_f64_e32 v[38:39], v[162:163], v[148:149]
	v_lshlrev_b32_e32 v148, 3, v76
	s_and_saveexec_b32 s0, s1
	s_cbranch_execz .LBB0_14
; %bb.13:
	v_add_f64_e32 v[149:150], v[48:49], v[24:25]
	v_mul_f64_e32 v[151:152], s[20:21], v[81:82]
	v_mul_f64_e32 v[153:154], s[22:23], v[81:82]
	;; [unrolled: 1-line block ×14, first 2 shown]
	s_mov_b32 s57, 0xbfeca52d
	s_mov_b32 s56, s18
	;; [unrolled: 1-line block ×6, first 2 shown]
	v_mul_f64_e32 v[181:182], s[34:35], v[144:145]
	v_mul_f64_e32 v[183:184], s[46:47], v[144:145]
	;; [unrolled: 1-line block ×9, first 2 shown]
	v_add_f64_e32 v[149:150], v[52:53], v[149:150]
	v_add_f64_e32 v[130:131], v[130:131], v[151:152]
	;; [unrolled: 1-line block ×3, first 2 shown]
	v_fma_f64 v[151:152], v[77:78], s[40:41], v[155:156]
	v_fma_f64 v[153:154], v[77:78], s[50:51], v[155:156]
	;; [unrolled: 1-line block ×10, first 2 shown]
	v_mul_f64_e32 v[81:82], s[48:49], v[144:145]
	v_add_f64_e32 v[140:141], v[140:141], v[163:164]
	v_add_f64_e32 v[138:139], v[138:139], v[165:166]
	v_fma_f64 v[163:164], v[79:80], s[10:11], v[167:168]
	v_fma_f64 v[165:166], v[79:80], s[54:55], v[167:168]
	;; [unrolled: 1-line block ×10, first 2 shown]
	v_mul_f64_e32 v[144:145], s[38:39], v[144:145]
	v_add_f64_e32 v[132:133], v[132:133], v[181:182]
	v_fma_f64 v[181:182], v[120:121], s[26:27], v[183:184]
	v_fma_f64 v[205:206], v[120:121], s[12:13], v[187:188]
	;; [unrolled: 1-line block ×5, first 2 shown]
	v_add_f64_e32 v[149:150], v[60:61], v[149:150]
	v_add_f64_e32 v[130:131], v[130:131], v[24:25]
	;; [unrolled: 1-line block ×13, first 2 shown]
	v_mul_f64_e32 v[76:77], s[22:23], v[142:143]
	v_mul_f64_e32 v[179:180], s[20:21], v[142:143]
	v_add_f64_e32 v[80:81], v[136:137], v[81:82]
	v_fma_f64 v[136:137], v[120:121], s[42:43], v[183:184]
	v_fma_f64 v[183:184], v[120:121], s[50:51], v[185:186]
	;; [unrolled: 1-line block ×3, first 2 shown]
	v_mul_f64_e32 v[142:143], s[48:49], v[142:143]
	v_fma_f64 v[209:210], v[120:121], s[18:19], v[144:145]
	v_fma_f64 v[120:121], v[120:121], s[56:57], v[144:145]
	v_add_f64_e32 v[149:150], v[64:65], v[149:150]
	v_add_f64_e32 v[130:131], v[140:141], v[130:131]
	;; [unrolled: 1-line block ×13, first 2 shown]
	v_mul_f64_e32 v[159:160], s[34:35], v[134:135]
	v_mul_f64_e32 v[161:162], s[48:49], v[134:135]
	v_mul_f64_e32 v[163:164], s[24:25], v[134:135]
	v_mul_f64_e32 v[165:166], s[38:39], v[134:135]
	v_add_f64_e32 v[76:77], v[126:127], v[76:77]
	v_add_f64_e32 v[124:125], v[124:125], v[179:180]
	v_fma_f64 v[126:127], v[114:115], s[18:19], v[197:198]
	v_fma_f64 v[171:172], v[114:115], s[56:57], v[197:198]
	;; [unrolled: 1-line block ×4, first 2 shown]
	v_mul_f64_e32 v[167:168], s[46:47], v[134:135]
	v_mul_f64_e32 v[169:170], s[20:21], v[134:135]
	v_fma_f64 v[177:178], v[114:115], s[50:51], v[201:202]
	v_fma_f64 v[191:192], v[114:115], s[52:53], v[203:204]
	v_mul_f64_e32 v[134:135], s[36:37], v[134:135]
	v_fma_f64 v[179:180], v[114:115], s[40:41], v[201:202]
	v_fma_f64 v[193:194], v[114:115], s[12:13], v[203:204]
	;; [unrolled: 1-line block ×4, first 2 shown]
	v_add_f64_e32 v[149:150], v[68:69], v[149:150]
	v_add_f64_e32 v[80:81], v[80:81], v[130:131]
	;; [unrolled: 1-line block ×13, first 2 shown]
	v_mul_f64_e32 v[151:152], s[46:47], v[122:123]
	v_mul_f64_e32 v[153:154], s[48:49], v[122:123]
	;; [unrolled: 1-line block ×3, first 2 shown]
	v_add_f64_e32 v[118:119], v[118:119], v[159:160]
	v_add_f64_e32 v[116:117], v[116:117], v[161:162]
	v_fma_f64 v[159:160], v[106:107], s[52:53], v[163:164]
	v_fma_f64 v[161:162], v[106:107], s[12:13], v[163:164]
	;; [unrolled: 1-line block ×4, first 2 shown]
	v_mul_f64_e32 v[157:158], s[34:35], v[122:123]
	v_mul_f64_e32 v[181:182], s[36:37], v[122:123]
	v_fma_f64 v[183:184], v[106:107], s[42:43], v[167:168]
	v_fma_f64 v[185:186], v[106:107], s[10:11], v[169:170]
	;; [unrolled: 1-line block ×6, first 2 shown]
	v_add_f64_e32 v[149:150], v[72:73], v[149:150]
	v_add_f64_e32 v[76:77], v[76:77], v[80:81]
	;; [unrolled: 1-line block ×13, first 2 shown]
	v_mul_f64_e32 v[138:139], s[46:47], v[112:113]
	v_mul_f64_e32 v[140:141], s[24:25], v[112:113]
	;; [unrolled: 1-line block ×4, first 2 shown]
	v_add_f64_e32 v[108:109], v[108:109], v[151:152]
	v_fma_f64 v[151:152], v[91:92], s[44:45], v[153:154]
	v_mul_f64_e32 v[171:172], s[38:39], v[112:113]
	v_fma_f64 v[173:174], v[91:92], s[14:15], v[157:158]
	v_fma_f64 v[157:158], v[91:92], s[16:17], v[157:158]
	;; [unrolled: 1-line block ×4, first 2 shown]
	v_add_f64_e32 v[149:150], v[56:57], v[149:150]
	v_add_f64_e32 v[76:77], v[118:119], v[76:77]
	;; [unrolled: 1-line block ×5, first 2 shown]
	v_mul_f64_e32 v[159:160], s[20:21], v[104:105]
	v_add_f64_e32 v[124:125], v[165:166], v[130:131]
	v_add_f64_e32 v[126:127], v[183:184], v[132:133]
	;; [unrolled: 1-line block ×3, first 2 shown]
	v_mul_f64_e32 v[132:133], s[36:37], v[104:105]
	v_add_f64_e32 v[78:79], v[106:107], v[78:79]
	v_add_f64_e32 v[106:107], v[169:170], v[114:115]
	v_add_f64_e32 v[24:25], v[187:188], v[24:25]
	v_mul_f64_e32 v[136:137], s[46:47], v[104:105]
	v_add_f64_e32 v[102:103], v[102:103], v[138:139]
	v_add_f64_e32 v[93:94], v[93:94], v[140:141]
	v_fma_f64 v[138:139], v[85:86], s[14:15], v[142:143]
	v_fma_f64 v[140:141], v[85:86], s[16:17], v[142:143]
	v_fma_f64 v[142:143], v[85:86], s[4:5], v[144:145]
	v_fma_f64 v[144:145], v[85:86], s[28:29], v[144:145]
	v_mul_f64_e32 v[161:162], s[34:35], v[104:105]
	v_fma_f64 v[165:166], v[85:86], s[56:57], v[171:172]
	v_add_f64_e32 v[149:150], v[44:45], v[149:150]
	v_add_f64_e32 v[80:81], v[108:109], v[80:81]
	v_add_f64_e32 v[89:90], v[89:90], v[132:133]
	v_fma_f64 v[132:133], v[83:84], s[10:11], v[159:160]
	s_delay_alu instid0(VALU_DEP_4) | instskip(NEXT) | instid1(VALU_DEP_4)
	v_add_f64_e32 v[149:150], v[40:41], v[149:150]
	v_add_f64_e32 v[80:81], v[93:94], v[80:81]
	s_delay_alu instid0(VALU_DEP_2) | instskip(NEXT) | instid1(VALU_DEP_1)
	v_add_f64_e32 v[149:150], v[32:33], v[149:150]
	v_add_f64_e32 v[146:147], v[28:29], v[149:150]
	v_mul_f64_e32 v[149:150], s[24:25], v[122:123]
	v_mul_f64_e32 v[122:123], s[22:23], v[122:123]
	s_delay_alu instid0(VALU_DEP_3) | instskip(NEXT) | instid1(VALU_DEP_3)
	v_add_f64_e32 v[120:121], v[16:17], v[146:147]
	v_add_f64_e32 v[110:111], v[110:111], v[149:150]
	v_fma_f64 v[149:150], v[91:92], s[30:31], v[153:154]
	v_fma_f64 v[153:154], v[91:92], s[54:55], v[155:156]
	;; [unrolled: 1-line block ×3, first 2 shown]
	v_mul_f64_e32 v[146:147], s[48:49], v[112:113]
	v_mul_f64_e32 v[112:113], s[20:21], v[112:113]
	v_fma_f64 v[179:180], v[91:92], s[28:29], v[122:123]
	v_fma_f64 v[91:92], v[91:92], s[4:5], v[122:123]
	v_add_f64_e32 v[122:123], v[163:164], v[128:129]
	v_add_f64_e32 v[128:129], v[167:168], v[134:135]
	v_mul_f64_e32 v[134:135], s[22:23], v[104:105]
	v_fma_f64 v[167:168], v[85:86], s[18:19], v[171:172]
	v_add_f64_e32 v[114:115], v[12:13], v[120:121]
	v_mul_f64_e32 v[120:121], s[38:39], v[104:105]
	v_add_f64_e32 v[76:77], v[110:111], v[76:77]
	v_add_f64_e32 v[108:109], v[149:150], v[116:117]
	;; [unrolled: 1-line block ×4, first 2 shown]
	v_mul_f64_e32 v[104:105], s[24:25], v[104:105]
	v_fma_f64 v[163:164], v[85:86], s[44:45], v[146:147]
	v_fma_f64 v[146:147], v[85:86], s[30:31], v[146:147]
	;; [unrolled: 1-line block ×4, first 2 shown]
	v_add_f64_e32 v[112:113], v[153:154], v[122:123]
	v_add_f64_e32 v[118:119], v[173:174], v[126:127]
	;; [unrolled: 1-line block ×7, first 2 shown]
	v_fma_f64 v[128:129], v[83:84], s[26:27], v[136:137]
	v_fma_f64 v[126:127], v[83:84], s[42:43], v[136:137]
	;; [unrolled: 1-line block ×4, first 2 shown]
	v_add_f64_e32 v[106:107], v[8:9], v[114:115]
	v_add_f64_e32 v[87:88], v[87:88], v[120:121]
	v_fma_f64 v[120:121], v[83:84], s[4:5], v[134:135]
	v_add_f64_e32 v[76:77], v[102:103], v[76:77]
	v_add_f64_e32 v[93:94], v[138:139], v[108:109]
	;; [unrolled: 1-line block ×4, first 2 shown]
	v_fma_f64 v[114:115], v[83:84], s[28:29], v[134:135]
	v_fma_f64 v[134:135], v[83:84], s[16:17], v[161:162]
	;; [unrolled: 1-line block ×4, first 2 shown]
	v_add_f64_e32 v[104:105], v[142:143], v[112:113]
	v_add_f64_e32 v[110:111], v[163:164], v[118:119]
	;; [unrolled: 1-line block ×10, first 2 shown]
	v_mul_u32_u24_e32 v90, 0x88, v101
	v_add_f64_e32 v[88:89], v[120:121], v[102:103]
	v_add_f64_e32 v[102:103], v[128:129], v[108:109]
	;; [unrolled: 1-line block ×3, first 2 shown]
	s_delay_alu instid0(VALU_DEP_4)
	v_add3_u32 v90, 0, v90, v148
	v_add_f64_e32 v[93:94], v[126:127], v[104:105]
	v_add_f64_e32 v[104:105], v[130:131], v[110:111]
	;; [unrolled: 1-line block ×8, first 2 shown]
	ds_store_2addr_b64 v90, v[36:37], v[38:39] offset0:8 offset1:9
	ds_store_2addr_b64 v90, v[20:21], v[22:23] offset0:10 offset1:11
	;; [unrolled: 1-line block ×7, first 2 shown]
	ds_store_2addr_b64 v90, v[84:85], v[78:79] offset1:1
	ds_store_b64 v90, v[24:25] offset:128
.LBB0_14:
	s_wait_alu 0xfffe
	s_or_b32 exec_lo, exec_lo, s0
	v_lshlrev_b32_e32 v25, 3, v101
	global_wb scope:SCOPE_SE
	s_wait_dscnt 0x0
	s_barrier_signal -1
	s_barrier_wait -1
	global_inv scope:SCOPE_SE
	v_add_nc_u32_e32 v142, 0, v25
	v_add3_u32 v141, 0, v148, v25
	v_cmp_gt_u32_e64 s0, 51, v101
	s_delay_alu instid0(VALU_DEP_3) | instskip(NEXT) | instid1(VALU_DEP_1)
	v_add_nc_u32_e32 v140, v142, v148
	v_add_nc_u32_e32 v24, 0x400, v140
	;; [unrolled: 1-line block ×3, first 2 shown]
	ds_load_2addr_b64 v[84:87], v140 offset0:68 offset1:187
	ds_load_2addr_b64 v[80:83], v24 offset0:127 offset1:246
	;; [unrolled: 1-line block ×3, first 2 shown]
	ds_load_b64 v[102:103], v141
	ds_load_b64 v[104:105], v140 offset:5032
	s_and_saveexec_b32 s4, s0
	s_cbranch_execz .LBB0_16
; %bb.15:
	v_add_nc_u32_e32 v20, 0xe00, v140
	ds_load_2addr_b64 v[36:39], v24 offset0:8 offset1:195
	ds_load_2addr_b64 v[20:23], v20 offset0:62 offset1:249
.LBB0_16:
	s_wait_alu 0xfffe
	s_or_b32 exec_lo, exec_lo, s4
	v_add_f64_e64 v[126:127], v[48:49], -v[0:1]
	s_mov_b32 s4, 0x6c9a05f6
	s_mov_b32 s14, 0x4363dd80
	;; [unrolled: 1-line block ×6, first 2 shown]
	v_add_f64_e32 v[108:109], v[50:51], v[2:3]
	v_add_f64_e64 v[136:137], v[52:53], -v[4:5]
	s_mov_b32 s10, 0x6ed5f1bb
	s_mov_b32 s12, 0x910ea3b9
	;; [unrolled: 1-line block ×10, first 2 shown]
	v_add_f64_e32 v[110:111], v[54:55], v[6:7]
	v_add_f64_e64 v[138:139], v[60:61], -v[8:9]
	s_mov_b32 s28, 0xc61f0d01
	s_mov_b32 s22, 0x2b2883cd
	;; [unrolled: 1-line block ×9, first 2 shown]
	s_wait_alu 0xfffe
	s_mov_b32 s38, s24
	v_add_f64_e32 v[112:113], v[10:11], v[62:63]
	v_add_f64_e64 v[124:125], v[64:65], -v[12:13]
	s_mov_b32 s26, 0x3259b75e
	s_mov_b32 s36, 0x2a9d6da3
	;; [unrolled: 1-line block ×5, first 2 shown]
	v_mul_f64_e32 v[132:133], s[4:5], v[126:127]
	v_mul_f64_e32 v[134:135], s[14:15], v[126:127]
	;; [unrolled: 1-line block ×3, first 2 shown]
	s_mov_b32 s44, s4
	v_add_f64_e32 v[64:65], v[14:15], v[66:67]
	v_add_f64_e64 v[118:119], v[68:69], -v[16:17]
	s_mov_b32 s34, 0x75d4884
	s_mov_b32 s35, 0x3fe7a5f6
	v_mul_f64_e32 v[128:129], s[40:41], v[136:137]
	v_mul_f64_e32 v[130:131], s[30:31], v[136:137]
	;; [unrolled: 1-line block ×3, first 2 shown]
	s_mov_b32 s47, 0x3fefdd0d
	s_mov_b32 s46, s42
	v_add_f64_e64 v[106:107], v[72:73], -v[28:29]
	s_mov_b32 s53, 0xbfe58eea
	s_wait_alu 0xfffe
	s_mov_b32 s52, s36
	v_add_f64_e64 v[56:57], v[56:57], -v[32:33]
	s_mov_b32 s49, 0xbfeec746
	s_mov_b32 s48, s40
	global_wb scope:SCOPE_SE
	s_wait_dscnt 0x0
	v_mul_f64_e32 v[120:121], s[38:39], v[138:139]
	v_mul_f64_e32 v[122:123], s[42:43], v[138:139]
	;; [unrolled: 1-line block ×3, first 2 shown]
	s_barrier_signal -1
	s_barrier_wait -1
	global_inv scope:SCOPE_SE
	v_mul_f64_e32 v[114:115], s[14:15], v[124:125]
	v_mul_f64_e32 v[116:117], s[44:45], v[124:125]
	;; [unrolled: 1-line block ×3, first 2 shown]
	v_fma_f64 v[8:9], v[108:109], s[10:11], v[132:133]
	v_fma_f64 v[24:25], v[108:109], s[12:13], v[134:135]
	v_fma_f64 v[48:49], v[108:109], s[16:17], -v[0:1]
	v_fma_f64 v[0:1], v[108:109], s[16:17], v[0:1]
	v_mul_f64_e32 v[68:69], s[46:47], v[118:119]
	v_mul_f64_e32 v[72:73], s[38:39], v[118:119]
	v_fma_f64 v[52:53], v[110:111], s[28:29], v[128:129]
	v_fma_f64 v[60:61], v[110:111], s[22:23], v[130:131]
	v_fma_f64 v[88:89], v[110:111], s[18:19], -v[4:5]
	v_fma_f64 v[4:5], v[110:111], s[18:19], v[4:5]
	s_wait_alu 0xfffe
	v_mul_f64_e32 v[32:33], s[52:53], v[106:107]
	v_fma_f64 v[90:91], v[112:113], s[18:19], v[120:121]
	v_fma_f64 v[92:93], v[112:113], s[26:27], v[122:123]
	v_fma_f64 v[94:95], v[112:113], s[12:13], -v[12:13]
	v_fma_f64 v[12:13], v[112:113], s[12:13], v[12:13]
	v_fma_f64 v[28:29], v[64:65], s[12:13], v[114:115]
	v_fma_f64 v[143:144], v[64:65], s[34:35], -v[16:17]
	v_fma_f64 v[16:17], v[64:65], s[34:35], v[16:17]
	v_add_f64_e32 v[8:9], v[8:9], v[26:27]
	v_add_f64_e32 v[24:25], v[24:25], v[26:27]
	;; [unrolled: 1-line block ×4, first 2 shown]
	s_delay_alu instid0(VALU_DEP_4) | instskip(NEXT) | instid1(VALU_DEP_4)
	v_add_f64_e32 v[8:9], v[52:53], v[8:9]
	v_add_f64_e32 v[24:25], v[60:61], v[24:25]
	s_delay_alu instid0(VALU_DEP_4) | instskip(NEXT) | instid1(VALU_DEP_4)
	v_add_f64_e32 v[48:49], v[88:89], v[48:49]
	v_add_f64_e32 v[0:1], v[4:5], v[0:1]
	;; [unrolled: 1-line block ×3, first 2 shown]
	v_mul_f64_e32 v[4:5], s[4:5], v[118:119]
	v_fma_f64 v[88:89], v[64:65], s[10:11], v[116:117]
	v_mul_f64_e32 v[52:53], s[20:21], v[106:107]
	v_add_f64_e32 v[8:9], v[90:91], v[8:9]
	v_add_f64_e32 v[24:25], v[92:93], v[24:25]
	v_add_f64_e32 v[90:91], v[94:95], v[48:49]
	v_add_f64_e32 v[0:1], v[12:13], v[0:1]
	v_add_f64_e32 v[48:49], v[74:75], v[30:31]
	v_mul_f64_e32 v[12:13], s[30:31], v[106:107]
	v_fma_f64 v[92:93], v[60:61], s[26:27], v[68:69]
	v_fma_f64 v[94:95], v[60:61], s[18:19], v[72:73]
	v_fma_f64 v[145:146], v[60:61], s[10:11], -v[4:5]
	v_fma_f64 v[4:5], v[60:61], s[10:11], v[4:5]
	v_add_f64_e32 v[149:150], v[28:29], v[8:9]
	v_add_f64_e32 v[88:89], v[88:89], v[24:25]
	;; [unrolled: 1-line block ×5, first 2 shown]
	v_add_f64_e64 v[28:29], v[44:45], -v[40:41]
	v_mul_f64_e32 v[16:17], s[20:21], v[56:57]
	v_mul_f64_e32 v[24:25], s[36:37], v[56:57]
	;; [unrolled: 1-line block ×3, first 2 shown]
	v_fma_f64 v[44:45], v[48:49], s[34:35], v[32:33]
	v_fma_f64 v[143:144], v[48:49], s[16:17], v[52:53]
	v_fma_f64 v[151:152], v[48:49], s[22:23], -v[12:13]
	v_fma_f64 v[153:154], v[48:49], s[22:23], v[12:13]
	v_add_f64_e32 v[12:13], v[42:43], v[46:47]
	v_add_f64_e32 v[92:93], v[92:93], v[149:150]
	;; [unrolled: 1-line block ×5, first 2 shown]
	v_mul_f64_e32 v[4:5], s[30:31], v[28:29]
	v_mul_f64_e32 v[0:1], s[48:49], v[28:29]
	;; [unrolled: 1-line block ×3, first 2 shown]
	v_fma_f64 v[149:150], v[8:9], s[16:17], v[16:17]
	v_fma_f64 v[155:156], v[8:9], s[34:35], v[24:25]
	v_fma_f64 v[157:158], v[8:9], s[28:29], -v[40:41]
	v_fma_f64 v[40:41], v[8:9], s[28:29], v[40:41]
	v_add_f64_e32 v[44:45], v[44:45], v[92:93]
	v_add_f64_e32 v[88:89], v[143:144], v[88:89]
	;; [unrolled: 1-line block ×4, first 2 shown]
	v_fma_f64 v[94:95], v[12:13], s[22:23], v[4:5]
	v_fma_f64 v[143:144], v[12:13], s[28:29], v[0:1]
	v_fma_f64 v[151:152], v[12:13], s[26:27], -v[145:146]
	v_fma_f64 v[145:146], v[12:13], s[26:27], v[145:146]
	v_add_f64_e32 v[44:45], v[149:150], v[44:45]
	v_add_f64_e32 v[88:89], v[155:156], v[88:89]
	;; [unrolled: 1-line block ×4, first 2 shown]
	s_delay_alu instid0(VALU_DEP_4) | instskip(NEXT) | instid1(VALU_DEP_4)
	v_add_f64_e32 v[94:95], v[94:95], v[44:45]
	v_add_f64_e32 v[92:93], v[143:144], v[88:89]
	s_delay_alu instid0(VALU_DEP_4) | instskip(NEXT) | instid1(VALU_DEP_4)
	v_add_f64_e32 v[88:89], v[151:152], v[90:91]
	v_add_f64_e32 v[90:91], v[145:146], v[40:41]
	s_and_saveexec_b32 s33, s1
	s_cbranch_execz .LBB0_18
; %bb.17:
	v_add_f64_e32 v[40:41], v[50:51], v[26:27]
	v_mul_f64_e32 v[44:45], s[38:39], v[126:127]
	v_mul_f64_e32 v[50:51], s[52:53], v[126:127]
	s_mov_b32 s51, 0xbfeca52d
	s_mov_b32 s50, s30
	v_mul_f64_e32 v[143:144], s[4:5], v[136:137]
	v_mul_f64_e32 v[145:146], s[28:29], v[110:111]
	;; [unrolled: 1-line block ×4, first 2 shown]
	s_mov_b32 s55, 0x3fc7851a
	s_mov_b32 s54, s20
	v_mul_f64_e32 v[161:162], s[40:41], v[138:139]
	v_mul_f64_e32 v[163:164], s[36:37], v[138:139]
	s_wait_alu 0xfffe
	v_mul_f64_e32 v[165:166], s[50:51], v[138:139]
	v_mul_f64_e32 v[175:176], s[40:41], v[124:125]
	;; [unrolled: 1-line block ×3, first 2 shown]
	v_add_f64_e32 v[40:41], v[54:55], v[40:41]
	v_mul_f64_e32 v[54:55], s[10:11], v[108:109]
	v_fma_f64 v[153:154], v[108:109], s[18:19], -v[44:45]
	v_fma_f64 v[155:156], v[108:109], s[34:35], -v[50:51]
	v_fma_f64 v[50:51], v[108:109], s[34:35], v[50:51]
	v_fma_f64 v[44:45], v[108:109], s[18:19], v[44:45]
	v_fma_f64 v[171:172], v[110:111], s[10:11], -v[143:144]
	v_fma_f64 v[143:144], v[110:111], s[10:11], v[143:144]
	v_fma_f64 v[173:174], v[110:111], s[16:17], -v[149:150]
	v_fma_f64 v[149:150], v[110:111], s[16:17], v[149:150]
	v_add_f64_e64 v[128:129], v[145:146], -v[128:129]
	v_add_f64_e64 v[130:131], v[151:152], -v[130:131]
	v_fma_f64 v[181:182], v[112:113], s[28:29], -v[161:162]
	v_fma_f64 v[161:162], v[112:113], s[28:29], v[161:162]
	v_fma_f64 v[183:184], v[112:113], s[34:35], -v[163:164]
	v_fma_f64 v[163:164], v[112:113], s[34:35], v[163:164]
	v_add_f64_e32 v[40:41], v[62:63], v[40:41]
	v_mul_f64_e32 v[62:63], s[42:43], v[126:127]
	v_add_f64_e64 v[54:55], v[54:55], -v[132:133]
	v_add_f64_e32 v[151:152], v[155:156], v[26:27]
	v_add_f64_e32 v[50:51], v[50:51], v[26:27]
	;; [unrolled: 1-line block ×3, first 2 shown]
	v_mul_f64_e32 v[66:67], s[12:13], v[108:109]
	v_fma_f64 v[157:158], v[108:109], s[26:27], -v[62:63]
	v_fma_f64 v[62:63], v[108:109], s[26:27], v[62:63]
	v_add_f64_e32 v[54:55], v[54:55], v[26:27]
	v_add_f64_e32 v[40:41], v[70:71], v[40:41]
	v_mul_f64_e32 v[70:71], s[48:49], v[126:127]
	v_add_f64_e64 v[66:67], v[66:67], -v[134:135]
	v_mul_f64_e32 v[134:135], s[4:5], v[138:139]
	v_mul_f64_e32 v[138:139], s[54:55], v[138:139]
	v_add_f64_e32 v[62:63], v[62:63], v[26:27]
	v_add_f64_e32 v[54:55], v[128:129], v[54:55]
	v_mul_f64_e32 v[128:129], s[48:49], v[118:119]
	v_add_f64_e32 v[40:41], v[74:75], v[40:41]
	v_mul_f64_e32 v[74:75], s[50:51], v[126:127]
	v_mul_f64_e32 v[126:127], s[42:43], v[136:137]
	v_fma_f64 v[159:160], v[108:109], s[28:29], -v[70:71]
	v_fma_f64 v[70:71], v[108:109], s[28:29], v[70:71]
	v_add_f64_e32 v[66:67], v[66:67], v[26:27]
	v_fma_f64 v[179:180], v[112:113], s[10:11], -v[134:135]
	v_fma_f64 v[134:135], v[112:113], s[10:11], v[134:135]
	v_add_f64_e32 v[62:63], v[149:150], v[62:63]
	v_add_f64_e32 v[40:41], v[58:59], v[40:41]
	v_mul_f64_e32 v[58:59], s[52:53], v[136:137]
	s_mov_b32 s53, 0x3fe0d888
	s_mov_b32 s52, s14
	v_fma_f64 v[132:133], v[108:109], s[22:23], v[74:75]
	s_wait_alu 0xfffe
	v_mul_f64_e32 v[136:137], s[52:53], v[136:137]
	v_fma_f64 v[169:170], v[110:111], s[26:27], -v[126:127]
	v_fma_f64 v[126:127], v[110:111], s[26:27], v[126:127]
	v_add_f64_e32 v[155:156], v[159:160], v[26:27]
	v_add_f64_e32 v[70:71], v[70:71], v[26:27]
	v_mul_f64_e32 v[159:160], s[20:21], v[124:125]
	v_add_f64_e32 v[66:67], v[130:131], v[66:67]
	v_mul_f64_e32 v[130:131], s[36:37], v[118:119]
	v_add_f64_e32 v[62:63], v[161:162], v[62:63]
	v_add_f64_e32 v[40:41], v[46:47], v[40:41]
	v_fma_f64 v[46:47], v[108:109], s[22:23], -v[74:75]
	v_mul_f64_e32 v[74:75], s[18:19], v[112:113]
	v_mul_f64_e32 v[108:109], s[26:27], v[112:113]
	v_fma_f64 v[167:168], v[110:111], s[34:35], -v[58:59]
	v_fma_f64 v[58:59], v[110:111], s[34:35], v[58:59]
	v_fma_f64 v[145:146], v[110:111], s[12:13], -v[136:137]
	v_fma_f64 v[110:111], v[110:111], s[12:13], v[136:137]
	v_add_f64_e32 v[136:137], v[153:154], v[26:27]
	v_add_f64_e32 v[153:154], v[157:158], v[26:27]
	;; [unrolled: 1-line block ×3, first 2 shown]
	v_mul_f64_e32 v[157:158], s[42:43], v[124:125]
	v_mul_f64_e32 v[124:125], s[50:51], v[124:125]
	v_add_f64_e32 v[50:51], v[126:127], v[50:51]
	v_add_f64_e32 v[40:41], v[42:43], v[40:41]
	;; [unrolled: 1-line block ×4, first 2 shown]
	v_mul_f64_e32 v[44:45], s[12:13], v[64:65]
	v_mul_f64_e32 v[46:47], s[10:11], v[64:65]
	v_add_f64_e64 v[74:75], v[74:75], -v[120:121]
	v_add_f64_e64 v[108:109], v[108:109], -v[122:123]
	v_fma_f64 v[120:121], v[112:113], s[22:23], -v[165:166]
	v_fma_f64 v[122:123], v[112:113], s[22:23], v[165:166]
	v_fma_f64 v[165:166], v[112:113], s[16:17], -v[138:139]
	v_fma_f64 v[112:113], v[112:113], s[16:17], v[138:139]
	v_add_f64_e32 v[136:137], v[167:168], v[136:137]
	v_add_f64_e32 v[138:139], v[169:170], v[151:152]
	;; [unrolled: 1-line block ×6, first 2 shown]
	v_mul_f64_e32 v[132:133], s[20:21], v[118:119]
	v_mul_f64_e32 v[143:144], s[52:53], v[118:119]
	;; [unrolled: 1-line block ×3, first 2 shown]
	v_fma_f64 v[149:150], v[64:65], s[26:27], -v[157:158]
	v_fma_f64 v[151:152], v[64:65], s[26:27], v[157:158]
	v_fma_f64 v[153:154], v[64:65], s[16:17], -v[159:160]
	v_fma_f64 v[155:156], v[64:65], s[16:17], v[159:160]
	;; [unrolled: 2-line block ×4, first 2 shown]
	v_add_f64_e32 v[50:51], v[134:135], v[50:51]
	v_mul_f64_e32 v[134:135], s[14:15], v[106:107]
	v_add_f64_e32 v[34:35], v[34:35], v[40:41]
	v_add_f64_e32 v[40:41], v[171:172], v[42:43]
	;; [unrolled: 1-line block ×3, first 2 shown]
	v_mul_f64_e32 v[42:43], s[26:27], v[60:61]
	v_mul_f64_e32 v[58:59], s[18:19], v[60:61]
	v_add_f64_e64 v[44:45], v[44:45], -v[114:115]
	v_add_f64_e64 v[46:47], v[46:47], -v[116:117]
	v_fma_f64 v[114:115], v[64:65], s[22:23], -v[124:125]
	v_fma_f64 v[64:65], v[64:65], s[22:23], v[124:125]
	v_add_f64_e32 v[54:55], v[74:75], v[54:55]
	v_add_f64_e32 v[66:67], v[108:109], v[66:67]
	;; [unrolled: 1-line block ×8, first 2 shown]
	v_mul_f64_e32 v[108:109], s[16:17], v[48:49]
	v_mul_f64_e32 v[110:111], s[4:5], v[106:107]
	;; [unrolled: 1-line block ×3, first 2 shown]
	v_fma_f64 v[136:137], v[60:61], s[28:29], -v[128:129]
	v_fma_f64 v[128:129], v[60:61], s[28:29], v[128:129]
	v_fma_f64 v[138:139], v[60:61], s[34:35], -v[130:131]
	v_fma_f64 v[130:131], v[60:61], s[34:35], v[130:131]
	;; [unrolled: 2-line block ×3, first 2 shown]
	v_add_f64_e32 v[62:63], v[169:170], v[62:63]
	v_add_f64_e32 v[50:51], v[155:156], v[50:51]
	v_fma_f64 v[155:156], v[48:49], s[12:13], -v[134:135]
	v_fma_f64 v[134:135], v[48:49], s[12:13], v[134:135]
	v_add_f64_e32 v[30:31], v[30:31], v[34:35]
	v_add_f64_e32 v[34:35], v[165:166], v[40:41]
	;; [unrolled: 1-line block ×3, first 2 shown]
	v_mul_f64_e32 v[40:41], s[34:35], v[48:49]
	v_mul_f64_e32 v[122:123], s[38:39], v[106:107]
	;; [unrolled: 1-line block ×3, first 2 shown]
	v_add_f64_e64 v[42:43], v[42:43], -v[68:69]
	v_add_f64_e64 v[58:59], v[58:59], -v[72:73]
	v_fma_f64 v[68:69], v[60:61], s[12:13], -v[143:144]
	v_fma_f64 v[72:73], v[60:61], s[12:13], v[143:144]
	v_fma_f64 v[143:144], v[60:61], s[22:23], -v[118:119]
	v_fma_f64 v[60:61], v[60:61], s[22:23], v[118:119]
	v_add_f64_e32 v[116:117], v[149:150], v[116:117]
	v_add_f64_e32 v[118:119], v[153:154], v[120:121]
	;; [unrolled: 1-line block ×8, first 2 shown]
	v_mul_f64_e32 v[70:71], s[14:15], v[56:57]
	v_mul_f64_e32 v[74:75], s[30:31], v[56:57]
	;; [unrolled: 1-line block ×5, first 2 shown]
	v_fma_f64 v[149:150], v[48:49], s[10:11], -v[110:111]
	v_mul_f64_e32 v[66:67], s[34:35], v[8:9]
	v_fma_f64 v[110:111], v[48:49], s[10:11], v[110:111]
	v_add_f64_e32 v[18:19], v[18:19], v[30:31]
	v_add_f64_e32 v[30:31], v[157:158], v[34:35]
	;; [unrolled: 1-line block ×3, first 2 shown]
	v_mul_f64_e32 v[34:35], s[16:17], v[8:9]
	v_fma_f64 v[151:152], v[48:49], s[28:29], -v[112:113]
	v_fma_f64 v[112:113], v[48:49], s[28:29], v[112:113]
	v_fma_f64 v[157:158], v[48:49], s[26:27], -v[106:107]
	v_add_f64_e64 v[32:33], v[40:41], -v[32:33]
	v_add_f64_e64 v[40:41], v[108:109], -v[52:53]
	v_add_f64_e32 v[50:51], v[72:73], v[50:51]
	v_fma_f64 v[153:154], v[48:49], s[18:19], -v[122:123]
	v_add_f64_e32 v[60:61], v[60:61], v[62:63]
	v_add_f64_e32 v[52:53], v[136:137], v[116:117]
	;; [unrolled: 1-line block ×7, first 2 shown]
	v_fma_f64 v[122:123], v[48:49], s[18:19], v[122:123]
	v_fma_f64 v[48:49], v[48:49], s[26:27], v[106:107]
	v_add_f64_e32 v[46:47], v[132:133], v[54:55]
	v_add_f64_e32 v[54:55], v[130:131], v[64:65]
	v_mul_f64_e32 v[64:65], s[20:21], v[28:29]
	v_mul_f64_e32 v[106:107], s[24:25], v[28:29]
	;; [unrolled: 1-line block ×5, first 2 shown]
	v_fma_f64 v[116:117], v[8:9], s[12:13], -v[70:71]
	v_fma_f64 v[70:71], v[8:9], s[12:13], v[70:71]
	v_fma_f64 v[118:119], v[8:9], s[22:23], -v[74:75]
	v_fma_f64 v[74:75], v[8:9], s[22:23], v[74:75]
	;; [unrolled: 2-line block ×3, first 2 shown]
	v_fma_f64 v[130:131], v[8:9], s[18:19], -v[56:57]
	v_mul_f64_e32 v[58:59], s[28:29], v[12:13]
	v_add_f64_e64 v[24:25], v[66:67], -v[24:25]
	v_add_f64_e32 v[14:15], v[14:15], v[18:19]
	v_add_f64_e32 v[18:19], v[138:139], v[30:31]
	;; [unrolled: 1-line block ×3, first 2 shown]
	v_mul_f64_e32 v[30:31], s[22:23], v[12:13]
	v_fma_f64 v[128:129], v[8:9], s[10:11], -v[126:127]
	v_fma_f64 v[126:127], v[8:9], s[10:11], v[126:127]
	v_fma_f64 v[8:9], v[8:9], s[18:19], v[56:57]
	v_add_f64_e64 v[16:17], v[34:35], -v[16:17]
	v_add_f64_e32 v[50:51], v[112:113], v[50:51]
	v_add_f64_e32 v[60:61], v[134:135], v[60:61]
	v_add_f64_e32 v[34:35], v[149:150], v[52:53]
	v_add_f64_e32 v[52:53], v[151:152], v[68:69]
	v_add_f64_e32 v[56:57], v[155:156], v[72:73]
	v_add_f64_e32 v[62:63], v[157:158], v[62:63]
	v_add_f64_e32 v[32:33], v[32:33], v[42:43]
	v_add_f64_e32 v[40:41], v[40:41], v[44:45]
	v_add_f64_e32 v[42:43], v[48:49], v[46:47]
	v_add_f64_e32 v[44:45], v[122:123], v[54:55]
	v_fma_f64 v[46:47], v[12:13], s[16:17], v[64:65]
	v_fma_f64 v[48:49], v[12:13], s[18:19], -v[106:107]
	v_fma_f64 v[54:55], v[12:13], s[18:19], v[106:107]
	v_fma_f64 v[66:67], v[12:13], s[12:13], v[108:109]
	v_fma_f64 v[68:69], v[12:13], s[34:35], -v[114:115]
	v_fma_f64 v[72:73], v[12:13], s[34:35], v[114:115]
	v_fma_f64 v[106:107], v[12:13], s[10:11], -v[28:29]
	v_add_f64_e64 v[0:1], v[58:59], -v[0:1]
	v_add_f64_e32 v[10:11], v[10:11], v[14:15]
	v_add_f64_e32 v[14:15], v[153:154], v[18:19]
	;; [unrolled: 1-line block ×3, first 2 shown]
	v_fma_f64 v[26:27], v[12:13], s[16:17], -v[64:65]
	v_fma_f64 v[64:65], v[12:13], s[12:13], -v[108:109]
	v_fma_f64 v[12:13], v[12:13], s[10:11], v[28:29]
	v_add_f64_e64 v[4:5], v[30:31], -v[4:5]
	v_add_f64_e32 v[28:29], v[116:117], v[34:35]
	v_add_f64_e32 v[30:31], v[118:119], v[52:53]
	;; [unrolled: 1-line block ×26, first 2 shown]
	v_lshlrev_b32_e32 v14, 7, v101
	s_delay_alu instid0(VALU_DEP_1)
	v_add3_u32 v14, v142, v14, v148
	ds_store_2addr_b64 v14, v[88:89], v[90:91] offset0:8 offset1:9
	ds_store_2addr_b64 v14, v[92:93], v[94:95] offset0:10 offset1:11
	;; [unrolled: 1-line block ×6, first 2 shown]
	ds_store_2addr_b64 v14, v[2:3], v[18:19] offset1:1
	ds_store_2addr_b64 v14, v[26:27], v[6:7] offset0:2 offset1:3
	ds_store_b64 v14, v[10:11] offset:128
.LBB0_18:
	s_or_b32 exec_lo, exec_lo, s33
	v_add_nc_u32_e32 v12, 0x400, v140
	v_add_nc_u32_e32 v8, 0xc00, v140
	global_wb scope:SCOPE_SE
	s_wait_dscnt 0x0
	s_barrier_signal -1
	s_barrier_wait -1
	global_inv scope:SCOPE_SE
	ds_load_2addr_b64 v[0:3], v140 offset0:68 offset1:187
	ds_load_2addr_b64 v[4:7], v12 offset0:127 offset1:246
	;; [unrolled: 1-line block ×3, first 2 shown]
	ds_load_b64 v[28:29], v141
	ds_load_b64 v[30:31], v140 offset:5032
	s_and_saveexec_b32 s1, s0
	s_cbranch_execz .LBB0_20
; %bb.19:
	v_add_nc_u32_e32 v13, 0xe00, v140
	ds_load_2addr_b64 v[88:91], v12 offset0:8 offset1:195
	ds_load_2addr_b64 v[92:95], v13 offset0:62 offset1:249
.LBB0_20:
	s_wait_alu 0xfffe
	s_or_b32 exec_lo, exec_lo, s1
	v_add_nc_u16 v12, v101, 0x44
	v_and_b32_e32 v13, 0xff, v101
	s_delay_alu instid0(VALU_DEP_2) | instskip(NEXT) | instid1(VALU_DEP_2)
	v_and_b32_e32 v14, 0xff, v12
	v_mul_lo_u16 v13, 0xf1, v13
	s_delay_alu instid0(VALU_DEP_2) | instskip(NEXT) | instid1(VALU_DEP_2)
	v_mul_lo_u16 v14, 0xf1, v14
	v_lshrrev_b16 v72, 12, v13
	s_delay_alu instid0(VALU_DEP_2) | instskip(NEXT) | instid1(VALU_DEP_2)
	v_lshrrev_b16 v73, 12, v14
	v_mul_lo_u16 v13, v72, 17
	s_delay_alu instid0(VALU_DEP_2) | instskip(NEXT) | instid1(VALU_DEP_2)
	v_mul_lo_u16 v14, v73, 17
	v_sub_nc_u16 v13, v101, v13
	s_delay_alu instid0(VALU_DEP_2) | instskip(NEXT) | instid1(VALU_DEP_2)
	v_sub_nc_u16 v12, v12, v14
	v_and_b32_e32 v74, 0xff, v13
	s_delay_alu instid0(VALU_DEP_2) | instskip(NEXT) | instid1(VALU_DEP_2)
	v_and_b32_e32 v75, 0xff, v12
	v_mul_u32_u24_e32 v12, 3, v74
	s_delay_alu instid0(VALU_DEP_2) | instskip(NEXT) | instid1(VALU_DEP_2)
	v_mul_u32_u24_e32 v13, 3, v75
	v_lshlrev_b32_e32 v16, 4, v12
	s_delay_alu instid0(VALU_DEP_2)
	v_lshlrev_b32_e32 v24, 4, v13
	s_clause 0x5
	global_load_b128 v[32:35], v16, s[8:9]
	global_load_b128 v[12:15], v16, s[8:9] offset:16
	global_load_b128 v[40:43], v16, s[8:9] offset:32
	global_load_b128 v[44:47], v24, s[8:9]
	global_load_b128 v[16:19], v24, s[8:9] offset:16
	global_load_b128 v[48:51], v24, s[8:9] offset:32
	v_add_nc_u16 v24, v101, 0x88
	s_delay_alu instid0(VALU_DEP_1) | instskip(NEXT) | instid1(VALU_DEP_1)
	v_and_b32_e32 v25, 0xff, v24
	v_mul_lo_u16 v25, 0xf1, v25
	s_delay_alu instid0(VALU_DEP_1) | instskip(NEXT) | instid1(VALU_DEP_1)
	v_lshrrev_b16 v106, 12, v25
	v_mul_lo_u16 v25, v106, 17
	s_delay_alu instid0(VALU_DEP_1) | instskip(NEXT) | instid1(VALU_DEP_1)
	v_sub_nc_u16 v24, v24, v25
	v_and_b32_e32 v107, 0xff, v24
	s_delay_alu instid0(VALU_DEP_1) | instskip(NEXT) | instid1(VALU_DEP_1)
	v_mul_u32_u24_e32 v24, 3, v107
	v_lshlrev_b32_e32 v24, 4, v24
	s_clause 0x2
	global_load_b128 v[52:55], v24, s[8:9]
	global_load_b128 v[56:59], v24, s[8:9] offset:32
	global_load_b128 v[24:27], v24, s[8:9] offset:16
	global_wb scope:SCOPE_SE
	s_wait_loadcnt_dscnt 0x0
	s_barrier_signal -1
	s_barrier_wait -1
	global_inv scope:SCOPE_SE
	v_mul_f64_e32 v[60:61], v[2:3], v[34:35]
	v_mul_f64_e32 v[62:63], v[6:7], v[14:15]
	;; [unrolled: 1-line block ×10, first 2 shown]
	v_fma_f64 v[60:61], v[86:87], v[32:33], v[60:61]
	v_fma_f64 v[62:63], v[82:83], v[12:13], v[62:63]
	;; [unrolled: 1-line block ×6, first 2 shown]
	v_fma_f64 v[2:3], v[2:3], v[32:33], -v[34:35]
	v_fma_f64 v[32:33], v[10:11], v[40:41], -v[42:43]
	v_fma_f64 v[4:5], v[4:5], v[44:45], -v[46:47]
	v_fma_f64 v[30:31], v[30:31], v[48:49], -v[50:51]
	v_mul_f64_e32 v[48:49], v[90:91], v[54:55]
	v_mul_f64_e32 v[50:51], v[38:39], v[54:55]
	v_add_f64_e64 v[34:35], v[102:103], -v[62:63]
	v_add_f64_e64 v[10:11], v[60:61], -v[64:65]
	v_mul_f64_e32 v[64:65], v[94:95], v[58:59]
	v_add_f64_e64 v[46:47], v[84:85], -v[68:69]
	v_add_f64_e64 v[40:41], v[66:67], -v[70:71]
	;; [unrolled: 3-line block ×3, first 2 shown]
	v_fma_f64 v[38:39], v[38:39], v[52:53], v[48:49]
	v_fma_f64 v[30:31], v[90:91], v[52:53], -v[50:51]
	v_fma_f64 v[32:33], v[102:103], 2.0, -v[34:35]
	v_fma_f64 v[54:55], v[60:61], 2.0, -v[10:11]
	v_fma_f64 v[22:23], v[22:23], v[56:57], v[64:65]
	v_fma_f64 v[60:61], v[84:85], 2.0, -v[46:47]
	v_fma_f64 v[62:63], v[66:67], 2.0, -v[40:41]
	v_fma_f64 v[48:49], v[94:95], v[56:57], -v[58:59]
	v_add_f64_e32 v[50:51], v[34:35], v[44:45]
	v_add_f64_e32 v[52:53], v[46:47], v[42:43]
	v_add_f64_e64 v[54:55], v[32:33], -v[54:55]
	v_add_f64_e64 v[62:63], v[60:61], -v[62:63]
	s_delay_alu instid0(VALU_DEP_4)
	v_fma_f64 v[56:57], v[34:35], 2.0, -v[50:51]
	v_add_f64_e64 v[34:35], v[30:31], -v[48:49]
	v_fma_f64 v[58:59], v[46:47], 2.0, -v[52:53]
	v_lshlrev_b32_e32 v47, 3, v74
	v_lshlrev_b32_e32 v49, 3, v75
	v_and_b32_e32 v46, 0xffff, v106
	v_fma_f64 v[64:65], v[32:33], 2.0, -v[54:55]
	v_add_f64_e64 v[32:33], v[38:39], -v[22:23]
	v_and_b32_e32 v22, 0xffff, v72
	v_fma_f64 v[60:61], v[60:61], 2.0, -v[62:63]
	v_and_b32_e32 v23, 0xffff, v73
	s_delay_alu instid0(VALU_DEP_3) | instskip(NEXT) | instid1(VALU_DEP_2)
	v_mad_u32_u24 v22, 0x220, v22, 0
	v_mad_u32_u24 v23, 0x220, v23, 0
	s_delay_alu instid0(VALU_DEP_2) | instskip(SKIP_1) | instid1(VALU_DEP_3)
	v_add3_u32 v48, v22, v47, v148
	v_lshlrev_b32_e32 v47, 3, v107
	v_add3_u32 v49, v23, v49, v148
	ds_store_2addr_b64 v48, v[54:55], v[50:51] offset0:34 offset1:51
	ds_store_2addr_b64 v48, v[64:65], v[56:57] offset1:17
	ds_store_2addr_b64 v49, v[60:61], v[58:59] offset1:17
	ds_store_2addr_b64 v49, v[62:63], v[52:53] offset0:34 offset1:51
	s_and_saveexec_b32 s1, s0
	s_cbranch_execz .LBB0_22
; %bb.21:
	v_mul_f64_e32 v[22:23], v[92:93], v[26:27]
	v_fma_f64 v[38:39], v[38:39], 2.0, -v[32:33]
	v_mad_u32_u24 v52, 0x220, v46, 0
	s_delay_alu instid0(VALU_DEP_1) | instskip(NEXT) | instid1(VALU_DEP_4)
	v_add3_u32 v52, v52, v47, v148
	v_fma_f64 v[22:23], v[20:21], v[24:25], v[22:23]
	s_delay_alu instid0(VALU_DEP_1) | instskip(NEXT) | instid1(VALU_DEP_1)
	v_add_f64_e64 v[22:23], v[36:37], -v[22:23]
	v_fma_f64 v[36:37], v[36:37], 2.0, -v[22:23]
	v_add_f64_e32 v[50:51], v[22:23], v[34:35]
	s_delay_alu instid0(VALU_DEP_2) | instskip(NEXT) | instid1(VALU_DEP_2)
	v_add_f64_e64 v[38:39], v[36:37], -v[38:39]
	v_fma_f64 v[22:23], v[22:23], 2.0, -v[50:51]
	s_delay_alu instid0(VALU_DEP_2)
	v_fma_f64 v[36:37], v[36:37], 2.0, -v[38:39]
	ds_store_2addr_b64 v52, v[36:37], v[22:23] offset1:17
	ds_store_2addr_b64 v52, v[38:39], v[50:51] offset0:34 offset1:51
.LBB0_22:
	s_wait_alu 0xfffe
	s_or_b32 exec_lo, exec_lo, s1
	v_mul_f64_e32 v[14:15], v[82:83], v[14:15]
	v_mul_f64_e32 v[18:19], v[76:77], v[18:19]
	v_fma_f64 v[2:3], v[2:3], 2.0, -v[44:45]
	v_fma_f64 v[4:5], v[4:5], 2.0, -v[42:43]
	global_wb scope:SCOPE_SE
	s_wait_dscnt 0x0
	s_barrier_signal -1
	s_barrier_wait -1
	global_inv scope:SCOPE_SE
	ds_load_b64 v[22:23], v141
	v_fma_f64 v[6:7], v[6:7], v[12:13], -v[14:15]
	v_fma_f64 v[8:9], v[8:9], v[16:17], -v[18:19]
	s_delay_alu instid0(VALU_DEP_2) | instskip(NEXT) | instid1(VALU_DEP_2)
	v_add_f64_e64 v[6:7], v[28:29], -v[6:7]
	v_add_f64_e64 v[8:9], v[0:1], -v[8:9]
	s_delay_alu instid0(VALU_DEP_2) | instskip(NEXT) | instid1(VALU_DEP_2)
	v_fma_f64 v[12:13], v[28:29], 2.0, -v[6:7]
	v_fma_f64 v[0:1], v[0:1], 2.0, -v[8:9]
	v_add_f64_e64 v[28:29], v[6:7], -v[10:11]
	v_add_f64_e64 v[36:37], v[8:9], -v[40:41]
	s_delay_alu instid0(VALU_DEP_4) | instskip(NEXT) | instid1(VALU_DEP_4)
	v_add_f64_e64 v[38:39], v[12:13], -v[2:3]
	v_add_f64_e64 v[40:41], v[0:1], -v[4:5]
	s_delay_alu instid0(VALU_DEP_4) | instskip(NEXT) | instid1(VALU_DEP_4)
	v_fma_f64 v[42:43], v[6:7], 2.0, -v[28:29]
	v_fma_f64 v[44:45], v[8:9], 2.0, -v[36:37]
	v_add_nc_u32_e32 v4, 0x400, v140
	v_add_nc_u32_e32 v5, 0x800, v140
	;; [unrolled: 1-line block ×4, first 2 shown]
	v_fma_f64 v[50:51], v[12:13], 2.0, -v[38:39]
	v_fma_f64 v[52:53], v[0:1], 2.0, -v[40:41]
	ds_load_2addr_b64 v[0:3], v140 offset0:68 offset1:136
	ds_load_2addr_b64 v[8:11], v4 offset0:76 offset1:144
	;; [unrolled: 1-line block ×5, first 2 shown]
	global_wb scope:SCOPE_SE
	s_wait_dscnt 0x0
	s_barrier_signal -1
	s_barrier_wait -1
	global_inv scope:SCOPE_SE
	ds_store_2addr_b64 v48, v[38:39], v[28:29] offset0:34 offset1:51
	ds_store_2addr_b64 v48, v[50:51], v[42:43] offset1:17
	ds_store_2addr_b64 v49, v[52:53], v[44:45] offset1:17
	ds_store_2addr_b64 v49, v[40:41], v[36:37] offset0:34 offset1:51
	s_and_saveexec_b32 s1, s0
	s_cbranch_execz .LBB0_24
; %bb.23:
	v_mul_f64_e32 v[20:21], v[20:21], v[26:27]
	s_delay_alu instid0(VALU_DEP_1) | instskip(SKIP_2) | instid1(VALU_DEP_1)
	v_fma_f64 v[20:21], v[92:93], v[24:25], -v[20:21]
	v_fma_f64 v[24:25], v[30:31], 2.0, -v[34:35]
	v_mad_u32_u24 v30, 0x220, v46, 0
	v_add3_u32 v30, v30, v47, v148
	s_delay_alu instid0(VALU_DEP_4) | instskip(NEXT) | instid1(VALU_DEP_1)
	v_add_f64_e64 v[20:21], v[88:89], -v[20:21]
	v_fma_f64 v[26:27], v[88:89], 2.0, -v[20:21]
	v_add_f64_e64 v[28:29], v[20:21], -v[32:33]
	s_delay_alu instid0(VALU_DEP_2) | instskip(NEXT) | instid1(VALU_DEP_2)
	v_add_f64_e64 v[24:25], v[26:27], -v[24:25]
	v_fma_f64 v[20:21], v[20:21], 2.0, -v[28:29]
	s_delay_alu instid0(VALU_DEP_2)
	v_fma_f64 v[26:27], v[26:27], 2.0, -v[24:25]
	ds_store_2addr_b64 v30, v[26:27], v[20:21] offset1:17
	ds_store_2addr_b64 v30, v[24:25], v[28:29] offset0:34 offset1:51
.LBB0_24:
	s_wait_alu 0xfffe
	s_or_b32 exec_lo, exec_lo, s1
	global_wb scope:SCOPE_SE
	s_wait_dscnt 0x0
	s_barrier_signal -1
	s_barrier_wait -1
	global_inv scope:SCOPE_SE
	s_and_saveexec_b32 s0, vcc_lo
	s_cbranch_execz .LBB0_26
; %bb.25:
	v_mul_u32_u24_e32 v20, 10, v101
	v_add_nc_u32_e32 v109, 0x400, v140
	v_add_nc_u32_e32 v110, 0xc00, v140
	s_mov_b32 s18, 0xbb3a28a1
	s_mov_b32 s22, 0xfd768dbf
	v_lshlrev_b32_e32 v20, 4, v20
	s_mov_b32 s19, 0xbfe82f19
	s_mov_b32 s23, 0xbfd207e7
	;; [unrolled: 1-line block ×4, first 2 shown]
	s_clause 0x9
	global_load_b128 v[24:27], v20, s[8:9] offset:816
	global_load_b128 v[28:31], v20, s[8:9] offset:880
	;; [unrolled: 1-line block ×10, first 2 shown]
	ds_load_2addr_b64 v[64:67], v140 offset0:68 offset1:136
	s_mov_b32 s14, 0x43842ef
	s_mov_b32 s20, 0xf8bb580b
	;; [unrolled: 1-line block ×5, first 2 shown]
	s_wait_alu 0xfffe
	s_mov_b32 s24, s20
	s_mov_b32 s8, 0x7f775887
	;; [unrolled: 1-line block ×15, first 2 shown]
	s_wait_loadcnt 0x9
	v_mul_f64_e32 v[20:21], v[0:1], v[26:27]
	v_mul_f64_e32 v[68:69], v[0:1], v[24:25]
	s_wait_loadcnt 0x8
	v_mul_f64_e32 v[70:71], v[16:17], v[28:29]
	s_wait_loadcnt 0x7
	v_mul_f64_e32 v[72:73], v[18:19], v[32:33]
	v_mul_f64_e32 v[74:75], v[16:17], v[30:31]
	v_mul_f64_e32 v[76:77], v[18:19], v[34:35]
	s_wait_loadcnt 0x6
	v_mul_f64_e32 v[78:79], v[10:11], v[36:37]
	s_wait_loadcnt 0x5
	v_mul_f64_e32 v[80:81], v[12:13], v[40:41]
	;; [unrolled: 6-line block ×3, first 2 shown]
	s_wait_loadcnt 0x2
	v_mul_f64_e32 v[88:89], v[2:3], v[52:53]
	s_wait_loadcnt 0x1
	v_mul_f64_e32 v[90:91], v[4:5], v[56:57]
	;; [unrolled: 2-line block ×3, first 2 shown]
	v_mul_f64_e32 v[94:95], v[8:9], v[46:47]
	v_mul_f64_e32 v[101:102], v[14:15], v[50:51]
	;; [unrolled: 1-line block ×5, first 2 shown]
	v_add_nc_u32_e32 v0, 0x800, v140
	v_add_nc_u32_e32 v4, 0x1000, v140
	ds_load_2addr_b64 v[0:3], v0 offset0:84 offset1:152
	ds_load_2addr_b64 v[6:9], v109 offset0:76 offset1:144
	;; [unrolled: 1-line block ×3, first 2 shown]
	s_wait_dscnt 0x3
	v_fma_f64 v[24:25], v[64:65], v[24:25], -v[20:21]
	v_fma_f64 v[26:27], v[64:65], v[26:27], v[68:69]
	ds_load_2addr_b64 v[18:21], v4 offset0:100 offset1:168
	ds_load_b64 v[64:65], v141
	s_wait_dscnt 0x4
	v_fma_f64 v[30:31], v[0:1], v[30:31], v[70:71]
	v_fma_f64 v[34:35], v[2:3], v[34:35], v[72:73]
	v_fma_f64 v[28:29], v[0:1], v[28:29], -v[74:75]
	v_fma_f64 v[32:33], v[2:3], v[32:33], -v[76:77]
	s_wait_dscnt 0x3
	v_fma_f64 v[38:39], v[8:9], v[38:39], v[78:79]
	s_wait_dscnt 0x2
	v_fma_f64 v[12:13], v[14:15], v[42:43], v[80:81]
	v_fma_f64 v[36:37], v[8:9], v[36:37], -v[10:11]
	v_fma_f64 v[14:15], v[14:15], v[40:41], -v[82:83]
	v_fma_f64 v[40:41], v[6:7], v[46:47], v[84:85]
	v_fma_f64 v[8:9], v[16:17], v[50:51], v[86:87]
	;; [unrolled: 1-line block ×3, first 2 shown]
	v_fma_f64 v[44:45], v[6:7], v[44:45], -v[94:95]
	v_fma_f64 v[10:11], v[16:17], v[48:49], -v[101:102]
	;; [unrolled: 1-line block ×3, first 2 shown]
	s_wait_dscnt 0x1
	v_fma_f64 v[4:5], v[18:19], v[58:59], v[90:91]
	v_fma_f64 v[0:1], v[20:21], v[62:63], v[92:93]
	v_fma_f64 v[6:7], v[18:19], v[56:57], -v[105:106]
	v_fma_f64 v[2:3], v[20:21], v[60:61], -v[107:108]
	s_wait_dscnt 0x0
	v_add_f64_e32 v[18:19], v[64:65], v[24:25]
	v_add_f64_e32 v[20:21], v[22:23], v[26:27]
	v_add_f64_e64 v[46:47], v[30:31], -v[34:35]
	v_add_f64_e32 v[74:75], v[30:31], v[34:35]
	v_add_f64_e64 v[56:57], v[28:29], -v[32:33]
	;; [unrolled: 2-line block ×7, first 2 shown]
	v_add_f64_e64 v[54:55], v[26:27], -v[0:1]
	v_add_f64_e64 v[62:63], v[16:17], -v[6:7]
	;; [unrolled: 1-line block ×3, first 2 shown]
	v_add_f64_e32 v[24:25], v[24:25], v[2:3]
	v_add_f64_e32 v[26:27], v[26:27], v[0:1]
	;; [unrolled: 1-line block ×6, first 2 shown]
	v_mul_f64_e32 v[105:106], s[16:17], v[46:47]
	v_mul_f64_e32 v[80:81], s[14:15], v[46:47]
	;; [unrolled: 1-line block ×9, first 2 shown]
	s_wait_alu 0xfffe
	v_mul_f64_e32 v[109:110], s[24:25], v[50:51]
	v_mul_f64_e32 v[84:85], s[18:19], v[50:51]
	;; [unrolled: 1-line block ×23, first 2 shown]
	v_add_f64_e32 v[18:19], v[44:45], v[18:19]
	v_add_f64_e32 v[20:21], v[40:41], v[20:21]
	v_mul_f64_e32 v[40:41], s[18:19], v[54:55]
	v_mul_f64_e32 v[44:45], s[16:17], v[56:57]
	s_mov_b32 s17, 0xbfed1bb4
	v_mul_f64_e32 v[60:61], s[14:15], v[60:61]
	s_wait_alu 0xfffe
	v_mul_f64_e32 v[54:55], s[16:17], v[54:55]
	v_mul_f64_e32 v[66:67], s[16:17], v[66:67]
	;; [unrolled: 1-line block ×10, first 2 shown]
	v_fma_f64 v[161:162], v[72:73], s[8:9], v[84:85]
	v_fma_f64 v[84:85], v[72:73], s[8:9], -v[84:85]
	v_mul_f64_e32 v[46:47], s[22:23], v[46:47]
	v_fma_f64 v[171:172], v[78:79], s[8:9], -v[94:95]
	v_fma_f64 v[94:95], v[78:79], s[8:9], v[94:95]
	v_fma_f64 v[163:164], v[16:17], s[10:11], v[86:87]
	;; [unrolled: 1-line block ×3, first 2 shown]
	v_fma_f64 v[88:89], v[24:25], s[4:5], -v[88:89]
	v_fma_f64 v[175:176], v[26:27], s[4:5], -v[103:104]
	;; [unrolled: 1-line block ×3, first 2 shown]
	v_fma_f64 v[119:120], v[26:27], s[8:9], v[119:120]
	v_fma_f64 v[103:104], v[26:27], s[4:5], v[103:104]
	;; [unrolled: 1-line block ×3, first 2 shown]
	v_fma_f64 v[183:184], v[26:27], s[12:13], -v[139:140]
	v_fma_f64 v[129:130], v[24:25], s[12:13], -v[129:130]
	v_fma_f64 v[139:140], v[26:27], s[12:13], v[139:140]
	v_fma_f64 v[185:186], v[24:25], s[10:11], v[157:158]
	v_fma_f64 v[187:188], v[26:27], s[10:11], -v[159:160]
	v_fma_f64 v[157:158], v[24:25], s[10:11], -v[157:158]
	;; [unrolled: 1-line block ×4, first 2 shown]
	v_fma_f64 v[101:102], v[42:43], s[10:11], v[101:102]
	v_add_f64_e32 v[18:19], v[36:37], v[18:19]
	v_add_f64_e32 v[20:21], v[38:39], v[20:21]
	v_mul_f64_e32 v[36:37], s[16:17], v[62:63]
	v_fma_f64 v[177:178], v[24:25], s[8:9], v[40:41]
	v_fma_f64 v[40:41], v[24:25], s[8:9], -v[40:41]
	v_fma_f64 v[193:194], v[16:17], s[8:9], v[147:148]
	v_fma_f64 v[189:190], v[24:25], s[0:1], -v[54:55]
	v_fma_f64 v[191:192], v[26:27], s[0:1], v[66:67]
	v_fma_f64 v[24:25], v[24:25], s[0:1], v[54:55]
	v_fma_f64 v[54:55], v[26:27], s[0:1], -v[66:67]
	v_fma_f64 v[26:27], v[26:27], s[10:11], v[159:160]
	v_fma_f64 v[66:67], v[16:17], s[12:13], -v[111:112]
	v_fma_f64 v[159:160], v[42:43], s[4:5], -v[137:138]
	v_fma_f64 v[137:138], v[42:43], s[4:5], v[137:138]
	v_fma_f64 v[195:196], v[42:43], s[8:9], -v[155:156]
	v_fma_f64 v[147:148], v[16:17], s[8:9], -v[147:148]
	v_fma_f64 v[155:156], v[42:43], s[8:9], v[155:156]
	v_fma_f64 v[197:198], v[16:17], s[0:1], v[52:53]
	;; [unrolled: 1-line block ×3, first 2 shown]
	v_fma_f64 v[203:204], v[78:79], s[12:13], -v[60:61]
	v_fma_f64 v[50:51], v[72:73], s[12:13], -v[50:51]
	v_fma_f64 v[60:61], v[78:79], s[12:13], v[60:61]
	v_fma_f64 v[62:63], v[70:71], s[0:1], v[82:83]
	v_add_f64_e32 v[88:89], v[64:65], v[88:89]
	v_fma_f64 v[169:170], v[76:77], s[0:1], -v[92:93]
	v_fma_f64 v[82:83], v[70:71], s[0:1], -v[82:83]
	v_add_f64_e32 v[119:120], v[22:23], v[119:120]
	v_add_f64_e32 v[103:104], v[22:23], v[103:104]
	v_fma_f64 v[92:93], v[76:77], s[0:1], v[92:93]
	v_mul_f64_e32 v[131:132], s[18:19], v[56:57]
	v_add_f64_e32 v[129:130], v[64:65], v[129:130]
	v_add_f64_e32 v[139:140], v[22:23], v[139:140]
	v_mul_f64_e32 v[149:150], s[20:21], v[56:57]
	v_mul_f64_e32 v[56:57], s[22:23], v[56:57]
	v_add_f64_e32 v[157:158], v[64:65], v[157:158]
	v_fma_f64 v[38:39], v[68:69], s[12:13], v[80:81]
	v_fma_f64 v[167:168], v[74:75], s[12:13], -v[90:91]
	v_fma_f64 v[80:81], v[68:69], s[12:13], -v[80:81]
	v_add_f64_e32 v[18:19], v[28:29], v[18:19]
	v_add_f64_e32 v[20:21], v[30:31], v[20:21]
	v_fma_f64 v[28:29], v[16:17], s[12:13], v[111:112]
	v_fma_f64 v[30:31], v[42:43], s[12:13], -v[117:118]
	v_fma_f64 v[111:112], v[42:43], s[12:13], v[117:118]
	v_fma_f64 v[117:118], v[16:17], s[4:5], v[127:128]
	v_fma_f64 v[127:128], v[16:17], s[4:5], -v[127:128]
	v_fma_f64 v[199:200], v[42:43], s[0:1], -v[36:37]
	;; [unrolled: 1-line block ×3, first 2 shown]
	v_fma_f64 v[36:37], v[42:43], s[0:1], v[36:37]
	v_add_f64_e32 v[42:43], v[64:65], v[165:166]
	v_add_f64_e32 v[52:53], v[22:23], v[175:176]
	v_add_f64_e32 v[165:166], v[64:65], v[177:178]
	v_add_f64_e32 v[175:176], v[22:23], v[179:180]
	v_add_f64_e32 v[40:41], v[64:65], v[40:41]
	v_add_f64_e32 v[177:178], v[64:65], v[181:182]
	v_add_f64_e32 v[179:180], v[22:23], v[183:184]
	v_add_f64_e32 v[181:182], v[64:65], v[185:186]
	v_add_f64_e32 v[183:184], v[22:23], v[187:188]
	v_add_f64_e32 v[185:186], v[64:65], v[189:190]
	v_add_f64_e32 v[187:188], v[22:23], v[191:192]
	v_add_f64_e32 v[24:25], v[64:65], v[24:25]
	v_add_f64_e32 v[54:55], v[22:23], v[54:55]
	v_add_f64_e32 v[22:23], v[22:23], v[26:27]
	v_fma_f64 v[26:27], v[72:73], s[10:11], v[109:110]
	v_fma_f64 v[64:65], v[78:79], s[10:11], v[115:116]
	;; [unrolled: 1-line block ×3, first 2 shown]
	v_fma_f64 v[191:192], v[78:79], s[4:5], -v[153:154]
	v_fma_f64 v[145:146], v[72:73], s[4:5], -v[145:146]
	v_fma_f64 v[153:154], v[78:79], s[4:5], v[153:154]
	v_fma_f64 v[90:91], v[74:75], s[12:13], v[90:91]
	v_add_f64_e32 v[18:19], v[32:33], v[18:19]
	v_add_f64_e32 v[20:21], v[34:35], v[20:21]
	v_fma_f64 v[32:33], v[78:79], s[10:11], -v[115:116]
	v_fma_f64 v[34:35], v[72:73], s[10:11], -v[109:110]
	v_fma_f64 v[109:110], v[72:73], s[0:1], v[125:126]
	v_fma_f64 v[115:116], v[78:79], s[0:1], -v[135:136]
	v_fma_f64 v[125:126], v[72:73], s[0:1], -v[125:126]
	v_fma_f64 v[135:136], v[78:79], s[0:1], v[135:136]
	v_add_f64_e32 v[72:73], v[86:87], v[88:89]
	v_add_f64_e32 v[78:79], v[101:102], v[103:104]
	;; [unrolled: 1-line block ×19, first 2 shown]
	v_fma_f64 v[137:138], v[70:71], s[12:13], v[143:144]
	v_fma_f64 v[139:140], v[76:77], s[12:13], -v[151:152]
	v_fma_f64 v[143:144], v[70:71], s[12:13], -v[143:144]
	v_fma_f64 v[147:148], v[76:77], s[12:13], v[151:152]
	v_fma_f64 v[151:152], v[70:71], s[8:9], v[48:49]
	v_fma_f64 v[48:49], v[70:71], s[8:9], -v[48:49]
	v_fma_f64 v[129:130], v[76:77], s[10:11], -v[133:134]
	v_fma_f64 v[133:134], v[76:77], s[10:11], v[133:134]
	v_fma_f64 v[155:156], v[76:77], s[8:9], -v[58:59]
	v_fma_f64 v[58:59], v[76:77], s[8:9], v[58:59]
	v_add_f64_e32 v[14:15], v[14:15], v[18:19]
	v_add_f64_e32 v[12:13], v[12:13], v[20:21]
	;; [unrolled: 1-line block ×3, first 2 shown]
	v_fma_f64 v[20:21], v[70:71], s[4:5], v[107:108]
	v_fma_f64 v[22:23], v[76:77], s[4:5], -v[113:114]
	v_fma_f64 v[36:37], v[70:71], s[4:5], -v[107:108]
	v_fma_f64 v[107:108], v[76:77], s[4:5], v[113:114]
	v_fma_f64 v[113:114], v[70:71], s[10:11], v[123:124]
	v_fma_f64 v[123:124], v[70:71], s[10:11], -v[123:124]
	v_add_f64_e32 v[70:71], v[84:85], v[72:73]
	v_add_f64_e32 v[42:43], v[161:162], v[42:43]
	;; [unrolled: 1-line block ×19, first 2 shown]
	v_fma_f64 v[86:87], v[68:69], s[8:9], v[121:122]
	v_fma_f64 v[94:95], v[68:69], s[8:9], -v[121:122]
	v_fma_f64 v[103:104], v[68:69], s[10:11], v[141:142]
	v_fma_f64 v[109:110], v[68:69], s[10:11], -v[141:142]
	;; [unrolled: 2-line block ×3, first 2 shown]
	v_fma_f64 v[101:102], v[74:75], s[8:9], v[131:132]
	v_fma_f64 v[111:112], v[74:75], s[10:11], v[149:150]
	v_fma_f64 v[88:89], v[74:75], s[8:9], -v[131:132]
	v_fma_f64 v[117:118], v[74:75], s[4:5], -v[56:57]
	v_add_f64_e32 v[10:11], v[10:11], v[14:15]
	v_add_f64_e32 v[8:9], v[8:9], v[12:13]
	;; [unrolled: 1-line block ×3, first 2 shown]
	v_fma_f64 v[18:19], v[74:75], s[0:1], -v[44:45]
	v_fma_f64 v[60:61], v[68:69], s[0:1], -v[105:106]
	v_fma_f64 v[44:45], v[74:75], s[0:1], v[44:45]
	v_fma_f64 v[14:15], v[68:69], s[0:1], v[105:106]
	v_fma_f64 v[105:106], v[74:75], s[10:11], -v[149:150]
	v_fma_f64 v[56:57], v[74:75], s[4:5], v[56:57]
	v_add_f64_e32 v[42:43], v[62:63], v[42:43]
	v_add_f64_e32 v[62:63], v[82:83], v[70:71]
	;; [unrolled: 1-line block ×19, first 2 shown]
	v_mul_lo_u32 v78, s3, v98
	v_mul_lo_u32 v79, s2, v99
	v_mad_co_u64_u32 v[76:77], null, s2, v98, 0
	v_add_f64_e32 v[72:73], v[6:7], v[10:11]
	v_add_f64_e32 v[74:75], v[4:5], v[8:9]
	;; [unrolled: 1-line block ×3, first 2 shown]
	s_delay_alu instid0(VALU_DEP_4)
	v_add3_u32 v77, v77, v79, v78
	v_add_f64_e32 v[6:7], v[38:39], v[42:43]
	v_add_f64_e32 v[10:11], v[80:81], v[62:63]
	;; [unrolled: 1-line block ×9, first 2 shown]
	v_mov_b32_e32 v101, 0
	v_add_f64_e32 v[38:39], v[109:110], v[50:51]
	v_add_f64_e32 v[36:37], v[111:112], v[66:67]
	;; [unrolled: 1-line block ×10, first 2 shown]
	v_lshlrev_b64_e32 v[44:45], 4, v[76:77]
	v_lshlrev_b64_e32 v[46:47], 4, v[96:97]
	s_delay_alu instid0(VALU_DEP_2)
	v_add_co_u32 v48, vcc_lo, s6, v44
	v_add_f64_e32 v[2:3], v[2:3], v[72:73]
	v_add_f64_e32 v[0:1], v[0:1], v[74:75]
	;; [unrolled: 1-line block ×3, first 2 shown]
	s_wait_alu 0xfffd
	v_add_co_ci_u32_e32 v49, vcc_lo, s7, v45, vcc_lo
	v_lshlrev_b64_e32 v[44:45], 4, v[100:101]
	v_add_co_u32 v46, vcc_lo, v48, v46
	s_wait_alu 0xfffd
	s_delay_alu instid0(VALU_DEP_3) | instskip(NEXT) | instid1(VALU_DEP_2)
	v_add_co_ci_u32_e32 v47, vcc_lo, v49, v47, vcc_lo
	v_add_co_u32 v44, vcc_lo, v46, v44
	s_wait_alu 0xfffd
	s_delay_alu instid0(VALU_DEP_2)
	v_add_co_ci_u32_e32 v45, vcc_lo, v47, v45, vcc_lo
	s_clause 0xa
	global_store_b128 v[44:45], v[16:19], off offset:4352
	global_store_b128 v[44:45], v[8:11], off offset:5440
	;; [unrolled: 1-line block ×8, first 2 shown]
	global_store_b128 v[44:45], v[0:3], off
	global_store_b128 v[44:45], v[32:35], off offset:1088
	global_store_b128 v[44:45], v[28:31], off offset:10880
.LBB0_26:
	s_nop 0
	s_sendmsg sendmsg(MSG_DEALLOC_VGPRS)
	s_endpgm
	.section	.rodata,"a",@progbits
	.p2align	6, 0x0
	.amdhsa_kernel fft_rtc_back_len748_factors_17_4_11_wgs_204_tpt_68_halfLds_dp_op_CI_CI_unitstride_sbrr_dirReg
		.amdhsa_group_segment_fixed_size 0
		.amdhsa_private_segment_fixed_size 0
		.amdhsa_kernarg_size 104
		.amdhsa_user_sgpr_count 2
		.amdhsa_user_sgpr_dispatch_ptr 0
		.amdhsa_user_sgpr_queue_ptr 0
		.amdhsa_user_sgpr_kernarg_segment_ptr 1
		.amdhsa_user_sgpr_dispatch_id 0
		.amdhsa_user_sgpr_private_segment_size 0
		.amdhsa_wavefront_size32 1
		.amdhsa_uses_dynamic_stack 0
		.amdhsa_enable_private_segment 0
		.amdhsa_system_sgpr_workgroup_id_x 1
		.amdhsa_system_sgpr_workgroup_id_y 0
		.amdhsa_system_sgpr_workgroup_id_z 0
		.amdhsa_system_sgpr_workgroup_info 0
		.amdhsa_system_vgpr_workitem_id 0
		.amdhsa_next_free_vgpr 211
		.amdhsa_next_free_sgpr 58
		.amdhsa_reserve_vcc 1
		.amdhsa_float_round_mode_32 0
		.amdhsa_float_round_mode_16_64 0
		.amdhsa_float_denorm_mode_32 3
		.amdhsa_float_denorm_mode_16_64 3
		.amdhsa_fp16_overflow 0
		.amdhsa_workgroup_processor_mode 1
		.amdhsa_memory_ordered 1
		.amdhsa_forward_progress 0
		.amdhsa_round_robin_scheduling 0
		.amdhsa_exception_fp_ieee_invalid_op 0
		.amdhsa_exception_fp_denorm_src 0
		.amdhsa_exception_fp_ieee_div_zero 0
		.amdhsa_exception_fp_ieee_overflow 0
		.amdhsa_exception_fp_ieee_underflow 0
		.amdhsa_exception_fp_ieee_inexact 0
		.amdhsa_exception_int_div_zero 0
	.end_amdhsa_kernel
	.text
.Lfunc_end0:
	.size	fft_rtc_back_len748_factors_17_4_11_wgs_204_tpt_68_halfLds_dp_op_CI_CI_unitstride_sbrr_dirReg, .Lfunc_end0-fft_rtc_back_len748_factors_17_4_11_wgs_204_tpt_68_halfLds_dp_op_CI_CI_unitstride_sbrr_dirReg
                                        ; -- End function
	.section	.AMDGPU.csdata,"",@progbits
; Kernel info:
; codeLenInByte = 11096
; NumSgprs: 60
; NumVgprs: 211
; ScratchSize: 0
; MemoryBound: 1
; FloatMode: 240
; IeeeMode: 1
; LDSByteSize: 0 bytes/workgroup (compile time only)
; SGPRBlocks: 7
; VGPRBlocks: 26
; NumSGPRsForWavesPerEU: 60
; NumVGPRsForWavesPerEU: 211
; Occupancy: 7
; WaveLimiterHint : 1
; COMPUTE_PGM_RSRC2:SCRATCH_EN: 0
; COMPUTE_PGM_RSRC2:USER_SGPR: 2
; COMPUTE_PGM_RSRC2:TRAP_HANDLER: 0
; COMPUTE_PGM_RSRC2:TGID_X_EN: 1
; COMPUTE_PGM_RSRC2:TGID_Y_EN: 0
; COMPUTE_PGM_RSRC2:TGID_Z_EN: 0
; COMPUTE_PGM_RSRC2:TIDIG_COMP_CNT: 0
	.text
	.p2alignl 7, 3214868480
	.fill 96, 4, 3214868480
	.type	__hip_cuid_b9c44f90436f0ef9,@object ; @__hip_cuid_b9c44f90436f0ef9
	.section	.bss,"aw",@nobits
	.globl	__hip_cuid_b9c44f90436f0ef9
__hip_cuid_b9c44f90436f0ef9:
	.byte	0                               ; 0x0
	.size	__hip_cuid_b9c44f90436f0ef9, 1

	.ident	"AMD clang version 19.0.0git (https://github.com/RadeonOpenCompute/llvm-project roc-6.4.0 25133 c7fe45cf4b819c5991fe208aaa96edf142730f1d)"
	.section	".note.GNU-stack","",@progbits
	.addrsig
	.addrsig_sym __hip_cuid_b9c44f90436f0ef9
	.amdgpu_metadata
---
amdhsa.kernels:
  - .args:
      - .actual_access:  read_only
        .address_space:  global
        .offset:         0
        .size:           8
        .value_kind:     global_buffer
      - .offset:         8
        .size:           8
        .value_kind:     by_value
      - .actual_access:  read_only
        .address_space:  global
        .offset:         16
        .size:           8
        .value_kind:     global_buffer
      - .actual_access:  read_only
        .address_space:  global
        .offset:         24
        .size:           8
        .value_kind:     global_buffer
      - .actual_access:  read_only
        .address_space:  global
        .offset:         32
        .size:           8
        .value_kind:     global_buffer
      - .offset:         40
        .size:           8
        .value_kind:     by_value
      - .actual_access:  read_only
        .address_space:  global
        .offset:         48
        .size:           8
        .value_kind:     global_buffer
      - .actual_access:  read_only
        .address_space:  global
        .offset:         56
        .size:           8
        .value_kind:     global_buffer
      - .offset:         64
        .size:           4
        .value_kind:     by_value
      - .actual_access:  read_only
        .address_space:  global
        .offset:         72
        .size:           8
        .value_kind:     global_buffer
      - .actual_access:  read_only
        .address_space:  global
        .offset:         80
        .size:           8
        .value_kind:     global_buffer
      - .actual_access:  read_only
        .address_space:  global
        .offset:         88
        .size:           8
        .value_kind:     global_buffer
      - .actual_access:  write_only
        .address_space:  global
        .offset:         96
        .size:           8
        .value_kind:     global_buffer
    .group_segment_fixed_size: 0
    .kernarg_segment_align: 8
    .kernarg_segment_size: 104
    .language:       OpenCL C
    .language_version:
      - 2
      - 0
    .max_flat_workgroup_size: 204
    .name:           fft_rtc_back_len748_factors_17_4_11_wgs_204_tpt_68_halfLds_dp_op_CI_CI_unitstride_sbrr_dirReg
    .private_segment_fixed_size: 0
    .sgpr_count:     60
    .sgpr_spill_count: 0
    .symbol:         fft_rtc_back_len748_factors_17_4_11_wgs_204_tpt_68_halfLds_dp_op_CI_CI_unitstride_sbrr_dirReg.kd
    .uniform_work_group_size: 1
    .uses_dynamic_stack: false
    .vgpr_count:     211
    .vgpr_spill_count: 0
    .wavefront_size: 32
    .workgroup_processor_mode: 1
amdhsa.target:   amdgcn-amd-amdhsa--gfx1201
amdhsa.version:
  - 1
  - 2
...

	.end_amdgpu_metadata
